;; amdgpu-corpus repo=ROCm/rocFFT kind=compiled arch=gfx906 opt=O3
	.text
	.amdgcn_target "amdgcn-amd-amdhsa--gfx906"
	.amdhsa_code_object_version 6
	.protected	bluestein_single_fwd_len975_dim1_dp_op_CI_CI ; -- Begin function bluestein_single_fwd_len975_dim1_dp_op_CI_CI
	.globl	bluestein_single_fwd_len975_dim1_dp_op_CI_CI
	.p2align	8
	.type	bluestein_single_fwd_len975_dim1_dp_op_CI_CI,@function
bluestein_single_fwd_len975_dim1_dp_op_CI_CI: ; @bluestein_single_fwd_len975_dim1_dp_op_CI_CI
; %bb.0:
	v_mul_u32_u24_e32 v1, 0x691, v0
	s_mov_b64 s[58:59], s[2:3]
	s_load_dwordx4 s[8:11], s[4:5], 0x28
	v_lshrrev_b32_e32 v1, 16, v1
	s_mov_b64 s[56:57], s[0:1]
	v_mad_u64_u32 v[222:223], s[0:1], s6, 3, v[1:2]
	v_mov_b32_e32 v233, 0
	v_mov_b32_e32 v223, v233
	s_add_u32 s56, s56, s7
	s_waitcnt lgkmcnt(0)
	v_cmp_gt_u64_e32 vcc, s[8:9], v[222:223]
	s_addc_u32 s57, s57, 0
	s_and_saveexec_b64 s[0:1], vcc
	s_cbranch_execz .LBB0_23
; %bb.1:
	s_load_dwordx4 s[0:3], s[4:5], 0x18
	s_load_dwordx2 s[16:17], s[4:5], 0x0
	v_mul_lo_u16_e32 v1, 39, v1
	v_sub_u16_e32 v232, v0, v1
	v_lshlrev_b32_e32 v166, 4, v232
	s_waitcnt lgkmcnt(0)
	s_load_dwordx4 s[12:15], s[0:1], 0x0
	v_add_co_u32_e64 v136, s[6:7], s16, v166
	s_waitcnt lgkmcnt(0)
	v_mad_u64_u32 v[0:1], s[0:1], s14, v222, 0
	v_mad_u64_u32 v[2:3], s[0:1], s12, v232, 0
	;; [unrolled: 1-line block ×4, first 2 shown]
	v_mov_b32_e32 v1, v4
	v_lshlrev_b64 v[0:1], 4, v[0:1]
	v_mov_b32_e32 v3, v5
	v_mov_b32_e32 v6, s11
	v_lshlrev_b64 v[2:3], 4, v[2:3]
	v_add_co_u32_e32 v0, vcc, s10, v0
	v_addc_co_u32_e32 v1, vcc, v6, v1, vcc
	s_mul_i32 s0, s13, 0x4b
	s_mul_hi_u32 s1, s12, 0x4b
	v_add_co_u32_e32 v0, vcc, v0, v2
	v_mov_b32_e32 v2, s17
	s_add_i32 s1, s1, s0
	s_mul_i32 s0, s12, 0x4b
	v_addc_co_u32_e32 v1, vcc, v1, v3, vcc
	v_addc_co_u32_e64 v137, vcc, 0, v2, s[6:7]
	s_lshl_b64 s[18:19], s[0:1], 4
	v_mov_b32_e32 v56, s19
	v_add_co_u32_e32 v2, vcc, s18, v0
	v_addc_co_u32_e32 v3, vcc, v1, v56, vcc
	global_load_dwordx4 v[8:11], v[0:1], off
	global_load_dwordx4 v[12:15], v[2:3], off
	global_load_dwordx4 v[65:68], v166, s[16:17]
	global_load_dwordx4 v[81:84], v166, s[16:17] offset:1200
	v_add_co_u32_e32 v0, vcc, s18, v2
	v_addc_co_u32_e32 v1, vcc, v3, v56, vcc
	v_add_co_u32_e32 v2, vcc, s18, v0
	v_addc_co_u32_e32 v3, vcc, v1, v56, vcc
	global_load_dwordx4 v[16:19], v[0:1], off
	global_load_dwordx4 v[20:23], v[2:3], off
	global_load_dwordx4 v[85:88], v166, s[16:17] offset:2400
	global_load_dwordx4 v[240:243], v166, s[16:17] offset:3600
	v_add_co_u32_e32 v2, vcc, s18, v2
	v_addc_co_u32_e32 v3, vcc, v3, v56, vcc
	s_movk_i32 s0, 0x1000
	v_add_co_u32_e32 v0, vcc, s0, v136
	v_addc_co_u32_e32 v1, vcc, 0, v137, vcc
	global_load_dwordx4 v[24:27], v[2:3], off
	v_add_co_u32_e32 v2, vcc, s18, v2
	v_addc_co_u32_e32 v3, vcc, v3, v56, vcc
	global_load_dwordx4 v[28:31], v[2:3], off
	global_load_dwordx4 v[93:96], v[0:1], off offset:704
	global_load_dwordx4 v[244:247], v[0:1], off offset:1904
	v_add_co_u32_e32 v2, vcc, s18, v2
	v_addc_co_u32_e32 v3, vcc, v3, v56, vcc
	v_add_co_u32_e32 v4, vcc, s18, v2
	v_addc_co_u32_e32 v5, vcc, v3, v56, vcc
	s_movk_i32 s0, 0x2000
	global_load_dwordx4 v[32:35], v[2:3], off
	global_load_dwordx4 v[227:230], v[0:1], off offset:3104
	v_add_co_u32_e32 v2, vcc, s0, v136
	v_addc_co_u32_e32 v3, vcc, 0, v137, vcc
	global_load_dwordx4 v[36:39], v[4:5], off
	v_add_co_u32_e32 v4, vcc, s18, v4
	v_addc_co_u32_e32 v5, vcc, v5, v56, vcc
	global_load_dwordx4 v[40:43], v[4:5], off
	global_load_dwordx4 v[89:92], v[2:3], off offset:208
	global_load_dwordx4 v[236:239], v[2:3], off offset:1408
	v_add_co_u32_e32 v4, vcc, s18, v4
	v_addc_co_u32_e32 v5, vcc, v5, v56, vcc
	global_load_dwordx4 v[44:47], v[4:5], off
	v_add_co_u32_e32 v4, vcc, s18, v4
	v_addc_co_u32_e32 v5, vcc, v5, v56, vcc
	v_add_co_u32_e32 v6, vcc, s18, v4
	v_addc_co_u32_e32 v7, vcc, v5, v56, vcc
	s_movk_i32 s0, 0x3000
	global_load_dwordx4 v[48:51], v[4:5], off
	global_load_dwordx4 v[77:80], v[2:3], off offset:2608
	global_load_dwordx4 v[223:226], v[2:3], off offset:3808
	v_add_co_u32_e32 v4, vcc, s0, v136
	v_addc_co_u32_e32 v5, vcc, 0, v137, vcc
	global_load_dwordx4 v[52:55], v[6:7], off
	v_add_co_u32_e32 v6, vcc, s18, v6
	v_addc_co_u32_e32 v7, vcc, v7, v56, vcc
	global_load_dwordx4 v[248:251], v[4:5], off offset:912
	global_load_dwordx4 v[56:59], v[6:7], off
	global_load_dwordx4 v[252:255], v[4:5], off offset:2112
	s_load_dwordx2 s[14:15], s[4:5], 0x38
	s_load_dwordx4 s[8:11], s[2:3], 0x0
	s_mov_b32 s0, 0xaaaaaaab
	v_mul_hi_u32 v64, v222, s0
	v_cmp_gt_u16_e64 s[0:1], 36, v232
	v_lshrrev_b32_e32 v64, 1, v64
	v_lshl_add_u32 v64, v64, 1, v64
	v_sub_u32_e32 v76, v222, v64
	s_waitcnt vmcnt(23)
	v_mul_f64 v[60:61], v[10:11], v[67:68]
	v_mul_f64 v[62:63], v[8:9], v[67:68]
	v_mul_u32_u24_e32 v167, 0x3cf, v76
	v_lshlrev_b32_e32 v177, 4, v167
	v_add_u32_e32 v176, v166, v177
	v_fma_f64 v[8:9], v[8:9], v[65:66], v[60:61]
	buffer_store_dword v65, off, s[56:59], 0 offset:96 ; 4-byte Folded Spill
	s_nop 0
	buffer_store_dword v66, off, s[56:59], 0 offset:100 ; 4-byte Folded Spill
	buffer_store_dword v67, off, s[56:59], 0 offset:104 ; 4-byte Folded Spill
	;; [unrolled: 1-line block ×3, first 2 shown]
	s_waitcnt vmcnt(26)
	v_mul_f64 v[60:61], v[14:15], v[83:84]
	s_waitcnt vmcnt(22)
	v_mul_f64 v[68:69], v[22:23], v[242:243]
	v_mul_f64 v[70:71], v[20:21], v[242:243]
	v_fma_f64 v[20:21], v[20:21], v[240:241], v[68:69]
	v_fma_f64 v[22:23], v[22:23], v[240:241], -v[70:71]
	s_waitcnt vmcnt(19)
	v_mul_f64 v[72:73], v[26:27], v[95:96]
	v_mul_f64 v[74:75], v[24:25], v[95:96]
	v_fma_f64 v[24:25], v[24:25], v[93:94], v[72:73]
	v_fma_f64 v[10:11], v[10:11], v[65:66], -v[62:63]
	v_mul_f64 v[64:65], v[18:19], v[87:88]
	v_mul_f64 v[62:63], v[12:13], v[83:84]
	v_fma_f64 v[12:13], v[12:13], v[81:82], v[60:61]
	buffer_store_dword v81, off, s[56:59], 0 offset:32 ; 4-byte Folded Spill
	s_nop 0
	buffer_store_dword v82, off, s[56:59], 0 offset:36 ; 4-byte Folded Spill
	buffer_store_dword v83, off, s[56:59], 0 offset:40 ; 4-byte Folded Spill
	;; [unrolled: 1-line block ×3, first 2 shown]
	v_mul_f64 v[66:67], v[16:17], v[87:88]
	v_fma_f64 v[16:17], v[16:17], v[85:86], v[64:65]
	buffer_store_dword v85, off, s[56:59], 0 offset:48 ; 4-byte Folded Spill
	s_nop 0
	buffer_store_dword v86, off, s[56:59], 0 offset:52 ; 4-byte Folded Spill
	buffer_store_dword v87, off, s[56:59], 0 offset:56 ; 4-byte Folded Spill
	;; [unrolled: 1-line block ×4, first 2 shown]
	s_nop 0
	buffer_store_dword v94, off, s[56:59], 0 offset:84 ; 4-byte Folded Spill
	buffer_store_dword v95, off, s[56:59], 0 offset:88 ; 4-byte Folded Spill
	;; [unrolled: 1-line block ×3, first 2 shown]
	v_fma_f64 v[14:15], v[14:15], v[81:82], -v[62:63]
	v_fma_f64 v[18:19], v[18:19], v[85:86], -v[66:67]
	;; [unrolled: 1-line block ×3, first 2 shown]
	ds_write_b128 v176, v[8:11]
	ds_write_b128 v176, v[12:15] offset:1200
	ds_write_b128 v176, v[16:19] offset:2400
	;; [unrolled: 1-line block ×4, first 2 shown]
	s_waitcnt vmcnt(25)
	v_mul_f64 v[16:17], v[38:39], v[91:92]
	s_waitcnt vmcnt(21)
	v_mul_f64 v[24:25], v[46:47], v[79:80]
	v_mul_f64 v[18:19], v[36:37], v[91:92]
	;; [unrolled: 1-line block ×7, first 2 shown]
	v_fma_f64 v[16:17], v[36:37], v[89:90], v[16:17]
	buffer_store_dword v89, off, s[56:59], 0 offset:64 ; 4-byte Folded Spill
	s_nop 0
	buffer_store_dword v90, off, s[56:59], 0 offset:68 ; 4-byte Folded Spill
	buffer_store_dword v91, off, s[56:59], 0 offset:72 ; 4-byte Folded Spill
	;; [unrolled: 1-line block ×3, first 2 shown]
	v_fma_f64 v[24:25], v[44:45], v[77:78], v[24:25]
	buffer_store_dword v77, off, s[56:59], 0 offset:16 ; 4-byte Folded Spill
	s_nop 0
	buffer_store_dword v78, off, s[56:59], 0 offset:20 ; 4-byte Folded Spill
	buffer_store_dword v79, off, s[56:59], 0 offset:24 ; 4-byte Folded Spill
	;; [unrolled: 1-line block ×3, first 2 shown]
	v_mul_f64 v[20:21], v[42:43], v[238:239]
	v_mul_f64 v[22:23], v[40:41], v[238:239]
	v_fma_f64 v[8:9], v[28:29], v[244:245], v[8:9]
	v_fma_f64 v[10:11], v[30:31], v[244:245], -v[10:11]
	s_waitcnt vmcnt(28)
	v_mul_f64 v[28:29], v[50:51], v[225:226]
	v_mul_f64 v[30:31], v[48:49], v[225:226]
	v_fma_f64 v[12:13], v[32:33], v[227:228], v[12:13]
	v_fma_f64 v[14:15], v[34:35], v[227:228], -v[14:15]
	s_waitcnt vmcnt(26)
	v_mul_f64 v[32:33], v[54:55], v[250:251]
	v_mul_f64 v[34:35], v[52:53], v[250:251]
	s_waitcnt vmcnt(24)
	v_mul_f64 v[36:37], v[58:59], v[254:255]
	v_fma_f64 v[20:21], v[40:41], v[236:237], v[20:21]
	v_fma_f64 v[22:23], v[42:43], v[236:237], -v[22:23]
	v_fma_f64 v[28:29], v[48:49], v[223:224], v[28:29]
	v_fma_f64 v[30:31], v[50:51], v[223:224], -v[30:31]
	;; [unrolled: 2-line block ×4, first 2 shown]
	v_mul_f64 v[38:39], v[56:57], v[254:255]
	v_fma_f64 v[26:27], v[46:47], v[77:78], -v[26:27]
	v_fma_f64 v[38:39], v[58:59], v[252:253], -v[38:39]
	ds_write_b128 v176, v[8:11] offset:6000
	ds_write_b128 v176, v[12:15] offset:7200
	;; [unrolled: 1-line block ×8, first 2 shown]
	s_and_saveexec_b64 s[2:3], s[0:1]
	s_cbranch_execz .LBB0_3
; %bb.2:
	v_mov_b32_e32 v8, 0xffffca30
	v_mad_u64_u32 v[10:11], s[20:21], s12, v8, v[6:7]
	s_mulk_i32 s13, 0xca30
	s_sub_i32 s12, s13, s12
	v_add_u32_e32 v11, s12, v11
	v_mov_b32_e32 v100, s19
	v_add_co_u32_e32 v22, vcc, s18, v10
	v_addc_co_u32_e32 v23, vcc, v11, v100, vcc
	v_add_co_u32_e32 v26, vcc, s18, v22
	v_addc_co_u32_e32 v27, vcc, v23, v100, vcc
	v_add_co_u32_e32 v38, vcc, s18, v26
	global_load_dwordx4 v[6:9], v[10:11], off
	v_addc_co_u32_e32 v39, vcc, v27, v100, vcc
	global_load_dwordx4 v[10:13], v[22:23], off
	global_load_dwordx4 v[14:17], v[136:137], off offset:624
	global_load_dwordx4 v[18:21], v[136:137], off offset:1824
	v_add_co_u32_e32 v42, vcc, s18, v38
	global_load_dwordx4 v[22:25], v[26:27], off
	v_addc_co_u32_e32 v43, vcc, v39, v100, vcc
	global_load_dwordx4 v[26:29], v[38:39], off
	global_load_dwordx4 v[30:33], v[136:137], off offset:3024
	global_load_dwordx4 v[34:37], v[0:1], off offset:128
	;; [unrolled: 6-line block ×3, first 2 shown]
	v_add_co_u32_e32 v58, vcc, s18, v54
	v_addc_co_u32_e32 v59, vcc, v55, v100, vcc
	v_add_co_u32_e32 v70, vcc, s18, v58
	v_addc_co_u32_e32 v71, vcc, v59, v100, vcc
	global_load_dwordx4 v[54:57], v[58:59], off
	s_nop 0
	global_load_dwordx4 v[58:61], v[70:71], off
	global_load_dwordx4 v[62:65], v[0:1], off offset:3728
	global_load_dwordx4 v[66:69], v[2:3], off offset:832
	v_add_co_u32_e32 v0, vcc, s18, v70
	v_addc_co_u32_e32 v1, vcc, v71, v100, vcc
	v_add_co_u32_e32 v82, vcc, s18, v0
	v_addc_co_u32_e32 v83, vcc, v1, v100, vcc
	;; [unrolled: 2-line block ×3, first 2 shown]
	global_load_dwordx4 v[70:73], v[0:1], off
	v_add_co_u32_e32 v98, vcc, s18, v86
	global_load_dwordx4 v[74:77], v[82:83], off
	global_load_dwordx4 v[78:81], v[2:3], off offset:2032
	s_nop 0
	global_load_dwordx4 v[0:3], v[2:3], off offset:3232
	v_addc_co_u32_e32 v99, vcc, v87, v100, vcc
	global_load_dwordx4 v[82:85], v[86:87], off
	v_add_co_u32_e32 v102, vcc, s18, v98
	global_load_dwordx4 v[86:89], v[98:99], off
	global_load_dwordx4 v[90:93], v[4:5], off offset:336
	global_load_dwordx4 v[94:97], v[4:5], off offset:1536
	v_addc_co_u32_e32 v103, vcc, v99, v100, vcc
	global_load_dwordx4 v[98:101], v[4:5], off offset:2736
	s_nop 0
	global_load_dwordx4 v[102:105], v[102:103], off
	s_waitcnt vmcnt(23)
	v_mul_f64 v[4:5], v[8:9], v[16:17]
	v_mul_f64 v[16:17], v[6:7], v[16:17]
	s_waitcnt vmcnt(22)
	v_mul_f64 v[106:107], v[12:13], v[20:21]
	v_mul_f64 v[20:21], v[10:11], v[20:21]
	;; [unrolled: 3-line block ×4, first 2 shown]
	v_fma_f64 v[4:5], v[6:7], v[14:15], v[4:5]
	v_fma_f64 v[6:7], v[8:9], v[14:15], -v[16:17]
	s_waitcnt vmcnt(15)
	v_mul_f64 v[112:113], v[40:41], v[48:49]
	v_mul_f64 v[48:49], v[38:39], v[48:49]
	v_fma_f64 v[8:9], v[10:11], v[18:19], v[106:107]
	v_fma_f64 v[10:11], v[12:13], v[18:19], -v[20:21]
	v_fma_f64 v[12:13], v[22:23], v[30:31], v[108:109]
	v_fma_f64 v[14:15], v[24:25], v[30:31], -v[32:33]
	;; [unrolled: 2-line block ×4, first 2 shown]
	s_waitcnt vmcnt(14)
	v_mul_f64 v[24:25], v[44:45], v[52:53]
	ds_write_b128 v176, v[4:7] offset:624
	ds_write_b128 v176, v[8:11] offset:1824
	;; [unrolled: 1-line block ×5, first 2 shown]
	v_mul_f64 v[6:7], v[42:43], v[52:53]
	s_waitcnt vmcnt(11)
	v_mul_f64 v[8:9], v[56:57], v[64:65]
	v_mul_f64 v[10:11], v[54:55], v[64:65]
	s_waitcnt vmcnt(10)
	v_mul_f64 v[12:13], v[60:61], v[68:69]
	v_mul_f64 v[14:15], v[58:59], v[68:69]
	v_fma_f64 v[4:5], v[42:43], v[50:51], v[24:25]
	v_fma_f64 v[6:7], v[44:45], v[50:51], -v[6:7]
	v_fma_f64 v[8:9], v[54:55], v[62:63], v[8:9]
	v_fma_f64 v[10:11], v[56:57], v[62:63], -v[10:11]
	v_fma_f64 v[12:13], v[58:59], v[66:67], v[12:13]
	s_waitcnt vmcnt(7)
	v_mul_f64 v[16:17], v[72:73], v[80:81]
	v_mul_f64 v[18:19], v[70:71], v[80:81]
	s_waitcnt vmcnt(6)
	v_mul_f64 v[20:21], v[76:77], v[2:3]
	v_mul_f64 v[2:3], v[74:75], v[2:3]
	v_fma_f64 v[14:15], v[60:61], v[66:67], -v[14:15]
	s_waitcnt vmcnt(3)
	v_mul_f64 v[24:25], v[84:85], v[92:93]
	v_mul_f64 v[26:27], v[82:83], v[92:93]
	s_waitcnt vmcnt(2)
	v_mul_f64 v[28:29], v[88:89], v[96:97]
	v_mul_f64 v[30:31], v[86:87], v[96:97]
	;; [unrolled: 3-line block ×3, first 2 shown]
	v_fma_f64 v[16:17], v[70:71], v[78:79], v[16:17]
	v_fma_f64 v[18:19], v[72:73], v[78:79], -v[18:19]
	v_fma_f64 v[20:21], v[74:75], v[0:1], v[20:21]
	v_fma_f64 v[22:23], v[76:77], v[0:1], -v[2:3]
	;; [unrolled: 2-line block ×5, first 2 shown]
	ds_write_b128 v176, v[4:7] offset:6624
	ds_write_b128 v176, v[8:11] offset:7824
	;; [unrolled: 1-line block ×8, first 2 shown]
.LBB0_3:
	s_or_b64 exec, exec, s[2:3]
	s_waitcnt vmcnt(0) lgkmcnt(0)
	s_barrier
	ds_read_b128 v[96:99], v176
	ds_read_b128 v[100:103], v176 offset:1200
	ds_read_b128 v[88:91], v176 offset:2400
	;; [unrolled: 1-line block ×12, first 2 shown]
	s_load_dwordx2 s[4:5], s[4:5], 0x8
                                        ; implicit-def: $vgpr4_vgpr5
                                        ; implicit-def: $vgpr8_vgpr9
                                        ; implicit-def: $vgpr12_vgpr13
                                        ; implicit-def: $vgpr16_vgpr17
                                        ; implicit-def: $vgpr20_vgpr21
                                        ; implicit-def: $vgpr24_vgpr25
                                        ; implicit-def: $vgpr28_vgpr29
                                        ; implicit-def: $vgpr32_vgpr33
                                        ; implicit-def: $vgpr36_vgpr37
                                        ; implicit-def: $vgpr40_vgpr41
                                        ; implicit-def: $vgpr44_vgpr45
                                        ; implicit-def: $vgpr48_vgpr49
                                        ; implicit-def: $vgpr52_vgpr53
	s_and_saveexec_b64 s[2:3], s[0:1]
	s_cbranch_execz .LBB0_5
; %bb.4:
	ds_read_b128 v[4:7], v176 offset:624
	ds_read_b128 v[8:11], v176 offset:1824
	;; [unrolled: 1-line block ×13, first 2 shown]
.LBB0_5:
	s_or_b64 exec, exec, s[2:3]
	s_waitcnt lgkmcnt(0)
	v_add_f64 v[56:57], v[96:97], v[100:101]
	v_add_f64 v[58:59], v[98:99], v[102:103]
	;; [unrolled: 1-line block ×3, first 2 shown]
	v_add_f64 v[102:103], v[102:103], -v[106:107]
	s_mov_b32 s22, 0x4267c47c
	s_mov_b32 s24, 0x42a4c3d2
	;; [unrolled: 1-line block ×4, first 2 shown]
	v_add_f64 v[56:57], v[56:57], v[88:89]
	v_add_f64 v[58:59], v[58:59], v[90:91]
	s_mov_b32 s34, 0x24c2f84
	s_mov_b32 s38, 0x4bc48dbf
	;; [unrolled: 1-line block ×6, first 2 shown]
	v_add_f64 v[56:57], v[56:57], v[80:81]
	v_add_f64 v[58:59], v[58:59], v[82:83]
	s_mov_b32 s35, 0xbfe5384d
	s_mov_b32 s39, 0xbfcea1e5
	v_add_f64 v[108:109], v[100:101], v[104:105]
	v_add_f64 v[100:101], v[100:101], -v[104:105]
	v_mul_f64 v[116:117], v[102:103], s[24:25]
	v_mul_f64 v[124:125], v[102:103], s[30:31]
	v_add_f64 v[56:57], v[56:57], v[72:73]
	v_add_f64 v[58:59], v[58:59], v[74:75]
	v_mul_f64 v[132:133], v[102:103], s[28:29]
	v_mul_f64 v[142:143], v[102:103], s[34:35]
	v_add_co_u32_e32 v162, vcc, 39, v232
	v_addc_co_u32_e64 v163, s[2:3], 0, 0, vcc
	v_add_f64 v[56:57], v[56:57], v[64:65]
	v_add_f64 v[58:59], v[58:59], v[66:67]
	s_mov_b32 s2, 0xe00740e9
	s_mov_b32 s12, 0x1ea71119
	;; [unrolled: 1-line block ×6, first 2 shown]
	v_add_f64 v[56:57], v[56:57], v[0:1]
	v_add_f64 v[58:59], v[58:59], v[2:3]
	s_mov_b32 s3, 0x3fec55a7
	s_mov_b32 s13, 0x3fe22d96
	;; [unrolled: 1-line block ×6, first 2 shown]
	v_add_f64 v[56:57], v[56:57], v[60:61]
	v_add_f64 v[58:59], v[58:59], v[62:63]
	v_mul_f64 v[112:113], v[100:101], s[22:23]
	v_fma_f64 v[118:119], v[108:109], s[12:13], -v[116:117]
	v_mul_f64 v[120:121], v[100:101], s[24:25]
	v_fma_f64 v[116:117], v[108:109], s[12:13], v[116:117]
	v_fma_f64 v[126:127], v[108:109], s[18:19], -v[124:125]
	v_mul_f64 v[128:129], v[100:101], s[30:31]
	v_add_f64 v[56:57], v[56:57], v[68:69]
	v_add_f64 v[58:59], v[58:59], v[70:71]
	v_fma_f64 v[124:125], v[108:109], s[18:19], v[124:125]
	v_fma_f64 v[134:135], v[108:109], s[20:21], -v[132:133]
	v_mul_f64 v[138:139], v[100:101], s[28:29]
	v_fma_f64 v[132:133], v[108:109], s[20:21], v[132:133]
	v_fma_f64 v[144:145], v[108:109], s[26:27], -v[142:143]
	v_mul_f64 v[146:147], v[100:101], s[34:35]
	v_add_f64 v[56:57], v[56:57], v[76:77]
	v_add_f64 v[58:59], v[58:59], v[78:79]
	v_fma_f64 v[142:143], v[108:109], s[26:27], v[142:143]
	v_mul_f64 v[100:101], v[100:101], s[38:39]
	v_fma_f64 v[114:115], v[110:111], s[2:3], v[112:113]
	v_fma_f64 v[112:113], v[110:111], s[2:3], -v[112:113]
	v_add_f64 v[118:119], v[96:97], v[118:119]
	v_fma_f64 v[122:123], v[110:111], s[12:13], v[120:121]
	v_add_f64 v[56:57], v[56:57], v[84:85]
	v_add_f64 v[58:59], v[58:59], v[86:87]
	;; [unrolled: 1-line block ×3, first 2 shown]
	v_fma_f64 v[120:121], v[110:111], s[12:13], -v[120:121]
	v_add_f64 v[126:127], v[96:97], v[126:127]
	v_fma_f64 v[130:131], v[110:111], s[18:19], v[128:129]
	v_add_f64 v[124:125], v[96:97], v[124:125]
	v_fma_f64 v[128:129], v[110:111], s[18:19], -v[128:129]
	v_add_f64 v[56:57], v[56:57], v[92:93]
	v_add_f64 v[58:59], v[58:59], v[94:95]
	;; [unrolled: 1-line block ×3, first 2 shown]
	v_fma_f64 v[140:141], v[110:111], s[20:21], v[138:139]
	v_add_f64 v[132:133], v[96:97], v[132:133]
	v_fma_f64 v[138:139], v[110:111], s[20:21], -v[138:139]
	v_add_f64 v[144:145], v[96:97], v[144:145]
	v_fma_f64 v[148:149], v[110:111], s[26:27], v[146:147]
	v_add_f64 v[56:57], v[56:57], v[104:105]
	v_mul_f64 v[104:105], v[102:103], s[22:23]
	v_mul_f64 v[102:103], v[102:103], s[38:39]
	v_add_f64 v[58:59], v[58:59], v[106:107]
	v_add_f64 v[142:143], v[96:97], v[142:143]
	v_fma_f64 v[146:147], v[110:111], s[26:27], -v[146:147]
	v_fma_f64 v[152:153], v[110:111], s[36:37], v[100:101]
	v_fma_f64 v[100:101], v[110:111], s[36:37], -v[100:101]
	v_add_f64 v[114:115], v[98:99], v[114:115]
	v_fma_f64 v[106:107], v[108:109], s[2:3], -v[104:105]
	v_fma_f64 v[104:105], v[108:109], s[2:3], v[104:105]
	v_fma_f64 v[150:151], v[108:109], s[36:37], -v[102:103]
	v_fma_f64 v[102:103], v[108:109], s[36:37], v[102:103]
	v_add_f64 v[112:113], v[98:99], v[112:113]
	v_add_f64 v[122:123], v[98:99], v[122:123]
	;; [unrolled: 1-line block ×9, first 2 shown]
	v_add_f64 v[90:91], v[90:91], -v[94:95]
	v_add_f64 v[128:129], v[98:99], v[128:129]
	v_add_f64 v[140:141], v[98:99], v[140:141]
	;; [unrolled: 1-line block ×8, first 2 shown]
	v_add_f64 v[88:89], v[88:89], -v[92:93]
	v_mul_f64 v[92:93], v[90:91], s[24:25]
	s_mov_b32 s41, 0x3fe5384d
	s_mov_b32 s40, s34
	;; [unrolled: 1-line block ×7, first 2 shown]
	v_fma_f64 v[94:95], v[100:101], s[12:13], -v[92:93]
	v_fma_f64 v[92:93], v[100:101], s[12:13], v[92:93]
	s_mov_b32 s46, s28
	s_mov_b32 s49, 0x3fcea1e5
	;; [unrolled: 1-line block ×5, first 2 shown]
	v_add_f64 v[158:159], v[30:31], v[34:35]
	v_add_f64 v[94:95], v[94:95], v[106:107]
	v_mul_f64 v[106:107], v[88:89], s[24:25]
	v_add_f64 v[92:93], v[92:93], v[104:105]
	v_mul_u32_u24_e32 v175, 13, v162
	s_barrier
	v_fma_f64 v[108:109], v[102:103], s[12:13], v[106:107]
	v_fma_f64 v[104:105], v[102:103], s[12:13], -v[106:107]
	v_mul_f64 v[106:107], v[90:91], s[28:29]
	v_add_f64 v[108:109], v[108:109], v[114:115]
	v_add_f64 v[104:105], v[104:105], v[112:113]
	v_fma_f64 v[110:111], v[100:101], s[20:21], -v[106:107]
	v_mul_f64 v[112:113], v[88:89], s[28:29]
	v_fma_f64 v[106:107], v[100:101], s[20:21], v[106:107]
	v_add_f64 v[110:111], v[110:111], v[118:119]
	v_fma_f64 v[114:115], v[102:103], s[20:21], v[112:113]
	v_add_f64 v[106:107], v[106:107], v[116:117]
	v_fma_f64 v[112:113], v[102:103], s[20:21], -v[112:113]
	v_mul_f64 v[116:117], v[90:91], s[38:39]
	v_add_f64 v[114:115], v[114:115], v[122:123]
	v_add_f64 v[112:113], v[112:113], v[120:121]
	v_fma_f64 v[118:119], v[100:101], s[36:37], -v[116:117]
	v_mul_f64 v[120:121], v[88:89], s[38:39]
	v_fma_f64 v[116:117], v[100:101], s[36:37], v[116:117]
	v_add_f64 v[118:119], v[118:119], v[126:127]
	v_fma_f64 v[122:123], v[102:103], s[36:37], v[120:121]
	v_add_f64 v[116:117], v[116:117], v[124:125]
	;; [unrolled: 10-line block ×3, first 2 shown]
	v_fma_f64 v[128:129], v[102:103], s[26:27], -v[128:129]
	v_mul_f64 v[132:133], v[90:91], s[42:43]
	v_mul_f64 v[90:91], v[90:91], s[44:45]
	v_add_f64 v[130:131], v[130:131], v[140:141]
	v_add_f64 v[128:129], v[128:129], v[138:139]
	v_fma_f64 v[134:135], v[100:101], s[18:19], -v[132:133]
	v_mul_f64 v[138:139], v[88:89], s[42:43]
	v_mul_f64 v[88:89], v[88:89], s[44:45]
	v_fma_f64 v[132:133], v[100:101], s[18:19], v[132:133]
	v_add_f64 v[134:135], v[134:135], v[144:145]
	v_fma_f64 v[140:141], v[102:103], s[18:19], v[138:139]
	v_fma_f64 v[144:145], v[102:103], s[2:3], v[88:89]
	v_fma_f64 v[88:89], v[102:103], s[2:3], -v[88:89]
	v_add_f64 v[132:133], v[132:133], v[142:143]
	v_fma_f64 v[142:143], v[100:101], s[2:3], -v[90:91]
	v_fma_f64 v[90:91], v[100:101], s[2:3], v[90:91]
	v_fma_f64 v[138:139], v[102:103], s[18:19], -v[138:139]
	v_add_f64 v[140:141], v[140:141], v[148:149]
	v_add_f64 v[144:145], v[144:145], v[152:153]
	;; [unrolled: 1-line block ×4, first 2 shown]
	v_add_f64 v[82:83], v[82:83], -v[86:87]
	v_add_f64 v[90:91], v[90:91], v[96:97]
	v_add_f64 v[96:97], v[80:81], v[84:85]
	v_add_f64 v[80:81], v[80:81], -v[84:85]
	v_add_f64 v[138:139], v[138:139], v[146:147]
	v_add_f64 v[142:143], v[142:143], v[150:151]
	;; [unrolled: 1-line block ×3, first 2 shown]
	v_mul_f64 v[84:85], v[82:83], s[30:31]
	v_fma_f64 v[86:87], v[96:97], s[18:19], -v[84:85]
	v_fma_f64 v[84:85], v[96:97], s[18:19], v[84:85]
	v_add_f64 v[86:87], v[86:87], v[94:95]
	v_mul_f64 v[94:95], v[80:81], s[30:31]
	v_add_f64 v[84:85], v[84:85], v[92:93]
	v_fma_f64 v[100:101], v[98:99], s[18:19], v[94:95]
	v_fma_f64 v[92:93], v[98:99], s[18:19], -v[94:95]
	v_mul_f64 v[94:95], v[82:83], s[38:39]
	v_add_f64 v[100:101], v[100:101], v[108:109]
	v_add_f64 v[92:93], v[92:93], v[104:105]
	v_fma_f64 v[102:103], v[96:97], s[36:37], -v[94:95]
	v_fma_f64 v[94:95], v[96:97], s[36:37], v[94:95]
	v_mul_f64 v[104:105], v[80:81], s[38:39]
	v_add_f64 v[102:103], v[102:103], v[110:111]
	v_add_f64 v[94:95], v[94:95], v[106:107]
	v_mul_f64 v[106:107], v[82:83], s[46:47]
	v_fma_f64 v[108:109], v[98:99], s[36:37], v[104:105]
	v_fma_f64 v[104:105], v[98:99], s[36:37], -v[104:105]
	v_fma_f64 v[110:111], v[96:97], s[20:21], -v[106:107]
	v_fma_f64 v[106:107], v[96:97], s[20:21], v[106:107]
	v_add_f64 v[104:105], v[104:105], v[112:113]
	v_mul_f64 v[112:113], v[80:81], s[46:47]
	v_add_f64 v[108:109], v[108:109], v[114:115]
	v_add_f64 v[110:111], v[110:111], v[118:119]
	;; [unrolled: 1-line block ×3, first 2 shown]
	v_mul_f64 v[116:117], v[82:83], s[44:45]
	v_fma_f64 v[114:115], v[98:99], s[20:21], v[112:113]
	v_fma_f64 v[112:113], v[98:99], s[20:21], -v[112:113]
	v_fma_f64 v[118:119], v[96:97], s[2:3], -v[116:117]
	v_fma_f64 v[116:117], v[96:97], s[2:3], v[116:117]
	v_add_f64 v[112:113], v[112:113], v[120:121]
	v_mul_f64 v[120:121], v[80:81], s[44:45]
	v_add_f64 v[114:115], v[114:115], v[122:123]
	v_add_f64 v[118:119], v[118:119], v[126:127]
	;; [unrolled: 1-line block ×3, first 2 shown]
	v_mul_f64 v[124:125], v[82:83], s[24:25]
	v_fma_f64 v[122:123], v[98:99], s[2:3], v[120:121]
	v_fma_f64 v[120:121], v[98:99], s[2:3], -v[120:121]
	v_mul_f64 v[82:83], v[82:83], s[34:35]
	v_fma_f64 v[126:127], v[96:97], s[12:13], -v[124:125]
	v_fma_f64 v[124:125], v[96:97], s[12:13], v[124:125]
	v_add_f64 v[120:121], v[120:121], v[128:129]
	v_mul_f64 v[128:129], v[80:81], s[24:25]
	v_mul_f64 v[80:81], v[80:81], s[34:35]
	v_add_f64 v[122:123], v[122:123], v[130:131]
	v_add_f64 v[126:127], v[126:127], v[134:135]
	;; [unrolled: 1-line block ×3, first 2 shown]
	v_fma_f64 v[132:133], v[96:97], s[26:27], -v[82:83]
	v_fma_f64 v[82:83], v[96:97], s[26:27], v[82:83]
	v_fma_f64 v[134:135], v[98:99], s[26:27], v[80:81]
	v_fma_f64 v[80:81], v[98:99], s[26:27], -v[80:81]
	v_fma_f64 v[130:131], v[98:99], s[12:13], v[128:129]
	v_fma_f64 v[128:129], v[98:99], s[12:13], -v[128:129]
	v_add_f64 v[132:133], v[132:133], v[142:143]
	v_add_f64 v[82:83], v[82:83], v[90:91]
	;; [unrolled: 1-line block ×3, first 2 shown]
	v_add_f64 v[74:75], v[74:75], -v[78:79]
	v_add_f64 v[80:81], v[80:81], v[88:89]
	v_add_f64 v[88:89], v[72:73], v[76:77]
	v_add_f64 v[72:73], v[72:73], -v[76:77]
	v_add_f64 v[130:131], v[130:131], v[140:141]
	v_add_f64 v[128:129], v[128:129], v[138:139]
	;; [unrolled: 1-line block ×4, first 2 shown]
	v_mul_f64 v[76:77], v[74:75], s[28:29]
	v_add_f64 v[144:145], v[22:23], v[42:43]
	v_add_f64 v[142:143], v[30:31], -v[34:35]
	v_mul_f64 v[98:99], v[72:73], s[40:41]
	v_add_f64 v[138:139], v[28:29], -v[32:33]
	v_fma_f64 v[78:79], v[88:89], s[20:21], -v[76:77]
	v_fma_f64 v[76:77], v[88:89], s[20:21], v[76:77]
	v_add_f64 v[78:79], v[78:79], v[86:87]
	v_mul_f64 v[86:87], v[72:73], s[28:29]
	v_add_f64 v[76:77], v[76:77], v[84:85]
	v_fma_f64 v[96:97], v[90:91], s[20:21], v[86:87]
	v_fma_f64 v[84:85], v[90:91], s[20:21], -v[86:87]
	v_mul_f64 v[86:87], v[74:75], s[40:41]
	v_add_f64 v[96:97], v[96:97], v[100:101]
	v_add_f64 v[84:85], v[84:85], v[92:93]
	v_fma_f64 v[92:93], v[88:89], s[26:27], -v[86:87]
	v_fma_f64 v[86:87], v[88:89], s[26:27], v[86:87]
	v_fma_f64 v[100:101], v[90:91], s[26:27], v[98:99]
	v_add_f64 v[92:93], v[92:93], v[102:103]
	v_add_f64 v[86:87], v[86:87], v[94:95]
	v_fma_f64 v[94:95], v[90:91], s[26:27], -v[98:99]
	v_mul_f64 v[98:99], v[74:75], s[44:45]
	v_add_f64 v[100:101], v[100:101], v[108:109]
	v_add_f64 v[94:95], v[94:95], v[104:105]
	v_fma_f64 v[102:103], v[88:89], s[2:3], -v[98:99]
	v_fma_f64 v[98:99], v[88:89], s[2:3], v[98:99]
	v_mul_f64 v[104:105], v[72:73], s[44:45]
	v_add_f64 v[102:103], v[102:103], v[110:111]
	v_add_f64 v[98:99], v[98:99], v[106:107]
	v_mul_f64 v[106:107], v[74:75], s[30:31]
	v_fma_f64 v[108:109], v[90:91], s[2:3], v[104:105]
	v_fma_f64 v[104:105], v[90:91], s[2:3], -v[104:105]
	v_fma_f64 v[110:111], v[88:89], s[18:19], -v[106:107]
	v_fma_f64 v[106:107], v[88:89], s[18:19], v[106:107]
	v_add_f64 v[104:105], v[104:105], v[112:113]
	v_mul_f64 v[112:113], v[72:73], s[30:31]
	v_add_f64 v[108:109], v[108:109], v[114:115]
	v_add_f64 v[110:111], v[110:111], v[118:119]
	;; [unrolled: 1-line block ×3, first 2 shown]
	v_mul_f64 v[116:117], v[74:75], s[48:49]
	v_fma_f64 v[114:115], v[90:91], s[18:19], v[112:113]
	v_fma_f64 v[112:113], v[90:91], s[18:19], -v[112:113]
	v_mul_f64 v[74:75], v[74:75], s[50:51]
	v_fma_f64 v[118:119], v[88:89], s[36:37], -v[116:117]
	v_fma_f64 v[116:117], v[88:89], s[36:37], v[116:117]
	v_add_f64 v[112:113], v[112:113], v[120:121]
	v_mul_f64 v[120:121], v[72:73], s[48:49]
	v_mul_f64 v[72:73], v[72:73], s[50:51]
	v_add_f64 v[114:115], v[114:115], v[122:123]
	v_add_f64 v[118:119], v[118:119], v[126:127]
	;; [unrolled: 1-line block ×3, first 2 shown]
	v_fma_f64 v[124:125], v[88:89], s[12:13], -v[74:75]
	v_fma_f64 v[74:75], v[88:89], s[12:13], v[74:75]
	v_fma_f64 v[126:127], v[90:91], s[12:13], v[72:73]
	v_fma_f64 v[72:73], v[90:91], s[12:13], -v[72:73]
	v_fma_f64 v[122:123], v[90:91], s[36:37], v[120:121]
	v_fma_f64 v[120:121], v[90:91], s[36:37], -v[120:121]
	v_add_f64 v[124:125], v[124:125], v[132:133]
	v_add_f64 v[74:75], v[74:75], v[82:83]
	;; [unrolled: 1-line block ×3, first 2 shown]
	v_add_f64 v[66:67], v[66:67], -v[70:71]
	v_add_f64 v[72:73], v[72:73], v[80:81]
	v_add_f64 v[80:81], v[64:65], v[68:69]
	v_add_f64 v[64:65], v[64:65], -v[68:69]
	v_add_f64 v[122:123], v[122:123], v[130:131]
	v_add_f64 v[120:121], v[120:121], v[128:129]
	;; [unrolled: 1-line block ×4, first 2 shown]
	v_mul_f64 v[68:69], v[66:67], s[34:35]
	v_add_f64 v[130:131], v[26:27], -v[38:39]
	v_mul_f64 v[132:133], v[142:143], s[38:39]
	v_mul_f64 v[90:91], v[64:65], s[42:43]
	;; [unrolled: 1-line block ×3, first 2 shown]
	v_fma_f64 v[70:71], v[80:81], s[26:27], -v[68:69]
	v_fma_f64 v[68:69], v[80:81], s[26:27], v[68:69]
	v_add_f64 v[70:71], v[70:71], v[78:79]
	v_mul_f64 v[78:79], v[64:65], s[34:35]
	v_add_f64 v[68:69], v[68:69], v[76:77]
	v_fma_f64 v[88:89], v[82:83], s[26:27], v[78:79]
	v_fma_f64 v[76:77], v[82:83], s[26:27], -v[78:79]
	v_mul_f64 v[78:79], v[66:67], s[42:43]
	v_add_f64 v[88:89], v[88:89], v[96:97]
	v_add_f64 v[76:77], v[76:77], v[84:85]
	v_fma_f64 v[84:85], v[80:81], s[18:19], -v[78:79]
	v_mul_f64 v[96:97], v[64:65], s[24:25]
	v_fma_f64 v[78:79], v[80:81], s[18:19], v[78:79]
	v_add_f64 v[84:85], v[84:85], v[92:93]
	v_fma_f64 v[92:93], v[82:83], s[18:19], v[90:91]
	v_add_f64 v[78:79], v[78:79], v[86:87]
	v_fma_f64 v[86:87], v[82:83], s[18:19], -v[90:91]
	v_mul_f64 v[90:91], v[66:67], s[24:25]
	v_add_f64 v[92:93], v[92:93], v[100:101]
	v_fma_f64 v[100:101], v[82:83], s[12:13], v[96:97]
	v_fma_f64 v[96:97], v[82:83], s[12:13], -v[96:97]
	v_add_f64 v[86:87], v[86:87], v[94:95]
	v_fma_f64 v[94:95], v[80:81], s[12:13], -v[90:91]
	v_fma_f64 v[90:91], v[80:81], s[12:13], v[90:91]
	v_add_f64 v[100:101], v[100:101], v[108:109]
	v_add_f64 v[96:97], v[96:97], v[104:105]
	v_mul_f64 v[104:105], v[64:65], s[48:49]
	v_add_f64 v[94:95], v[94:95], v[102:103]
	v_add_f64 v[90:91], v[90:91], v[98:99]
	v_mul_f64 v[98:99], v[66:67], s[48:49]
	v_fma_f64 v[108:109], v[82:83], s[36:37], v[104:105]
	v_fma_f64 v[104:105], v[82:83], s[36:37], -v[104:105]
	v_fma_f64 v[102:103], v[80:81], s[36:37], -v[98:99]
	v_fma_f64 v[98:99], v[80:81], s[36:37], v[98:99]
	v_add_f64 v[108:109], v[108:109], v[114:115]
	v_add_f64 v[104:105], v[104:105], v[112:113]
	v_mul_f64 v[112:113], v[64:65], s[44:45]
	v_add_f64 v[102:103], v[102:103], v[110:111]
	v_add_f64 v[98:99], v[98:99], v[106:107]
	v_mul_f64 v[106:107], v[66:67], s[44:45]
	v_mul_f64 v[64:65], v[64:65], s[28:29]
	;; [unrolled: 1-line block ×3, first 2 shown]
	v_fma_f64 v[114:115], v[82:83], s[2:3], v[112:113]
	v_fma_f64 v[112:113], v[82:83], s[2:3], -v[112:113]
	v_fma_f64 v[110:111], v[80:81], s[2:3], -v[106:107]
	v_fma_f64 v[106:107], v[80:81], s[2:3], v[106:107]
	v_add_f64 v[114:115], v[114:115], v[122:123]
	v_add_f64 v[122:123], v[2:3], v[62:63]
	v_add_f64 v[2:3], v[2:3], -v[62:63]
	v_add_f64 v[112:113], v[112:113], v[120:121]
	v_add_f64 v[120:121], v[0:1], v[60:61]
	v_add_f64 v[0:1], v[0:1], -v[60:61]
	v_add_f64 v[110:111], v[110:111], v[118:119]
	v_fma_f64 v[118:119], v[82:83], s[20:21], v[64:65]
	v_fma_f64 v[64:65], v[82:83], s[20:21], -v[64:65]
	v_add_f64 v[106:107], v[106:107], v[116:117]
	v_mul_f64 v[60:61], v[2:3], s[38:39]
	v_fma_f64 v[116:117], v[80:81], s[20:21], -v[66:67]
	v_fma_f64 v[66:67], v[80:81], s[20:21], v[66:67]
	v_add_f64 v[118:119], v[118:119], v[126:127]
	v_add_f64 v[82:83], v[64:65], v[72:73]
	v_add_f64 v[126:127], v[24:25], -v[36:37]
	v_fma_f64 v[62:63], v[120:121], s[36:37], -v[60:61]
	v_fma_f64 v[60:61], v[120:121], s[36:37], v[60:61]
	v_add_f64 v[80:81], v[66:67], v[74:75]
	v_add_f64 v[116:117], v[116:117], v[124:125]
	v_mul_f64 v[124:125], v[126:127], s[34:35]
	v_add_f64 v[64:65], v[62:63], v[70:71]
	v_mul_f64 v[62:63], v[0:1], s[38:39]
	;; [unrolled: 2-line block ×3, first 2 shown]
	v_fma_f64 v[66:67], v[122:123], s[36:37], v[62:63]
	v_fma_f64 v[62:63], v[122:123], s[36:37], -v[62:63]
	v_fma_f64 v[70:71], v[120:121], s[2:3], -v[68:69]
	v_fma_f64 v[68:69], v[120:121], s[2:3], v[68:69]
	v_add_f64 v[66:67], v[66:67], v[88:89]
	v_add_f64 v[62:63], v[62:63], v[76:77]
	v_mul_f64 v[76:77], v[2:3], s[34:35]
	v_add_f64 v[68:69], v[68:69], v[78:79]
	v_add_f64 v[72:73], v[70:71], v[84:85]
	v_mul_f64 v[70:71], v[0:1], s[44:45]
	v_fma_f64 v[78:79], v[120:121], s[26:27], -v[76:77]
	v_fma_f64 v[76:77], v[120:121], s[26:27], v[76:77]
	v_fma_f64 v[74:75], v[122:123], s[2:3], v[70:71]
	v_fma_f64 v[70:71], v[122:123], s[2:3], -v[70:71]
	v_add_f64 v[148:149], v[78:79], v[94:95]
	v_mul_f64 v[78:79], v[0:1], s[34:35]
	v_add_f64 v[152:153], v[76:77], v[90:91]
	v_add_f64 v[74:75], v[74:75], v[92:93]
	v_add_f64 v[70:71], v[70:71], v[86:87]
	v_add_f64 v[94:95], v[10:11], v[54:55]
	v_add_f64 v[92:93], v[12:13], -v[48:49]
	v_fma_f64 v[76:77], v[122:123], s[26:27], -v[78:79]
	v_fma_f64 v[84:85], v[122:123], s[26:27], v[78:79]
	v_mul_f64 v[90:91], v[92:93], s[24:25]
	v_add_f64 v[154:155], v[76:77], v[96:97]
	v_mul_f64 v[76:77], v[2:3], s[50:51]
	v_add_f64 v[150:151], v[84:85], v[100:101]
	v_add_f64 v[96:97], v[14:15], -v[50:51]
	v_fma_f64 v[78:79], v[120:121], s[12:13], -v[76:77]
	v_fma_f64 v[76:77], v[120:121], s[12:13], v[76:77]
	v_mul_f64 v[86:87], v[96:97], s[24:25]
	v_add_f64 v[168:169], v[78:79], v[102:103]
	v_mul_f64 v[78:79], v[0:1], s[50:51]
	v_add_f64 v[178:179], v[76:77], v[98:99]
	v_fma_f64 v[76:77], v[122:123], s[12:13], -v[78:79]
	v_fma_f64 v[84:85], v[122:123], s[12:13], v[78:79]
	v_add_f64 v[180:181], v[76:77], v[104:105]
	v_mul_f64 v[76:77], v[2:3], s[28:29]
	v_mul_f64 v[2:3], v[2:3], s[42:43]
	v_add_f64 v[170:171], v[84:85], v[108:109]
	v_add_f64 v[104:105], v[16:17], -v[44:45]
	v_fma_f64 v[78:79], v[120:121], s[20:21], -v[76:77]
	v_fma_f64 v[76:77], v[120:121], s[20:21], v[76:77]
	v_mul_f64 v[102:103], v[104:105], s[30:31]
	v_add_f64 v[182:183], v[78:79], v[110:111]
	v_mul_f64 v[78:79], v[0:1], s[28:29]
	v_add_f64 v[186:187], v[76:77], v[106:107]
	v_mul_f64 v[0:1], v[0:1], s[42:43]
	v_add_f64 v[106:107], v[18:19], -v[46:47]
	v_fma_f64 v[76:77], v[122:123], s[20:21], -v[78:79]
	v_fma_f64 v[84:85], v[122:123], s[20:21], v[78:79]
	v_mul_f64 v[98:99], v[106:107], s[30:31]
	v_add_f64 v[188:189], v[76:77], v[112:113]
	v_fma_f64 v[76:77], v[120:121], s[18:19], -v[2:3]
	v_add_f64 v[112:113], v[10:11], -v[54:55]
	v_add_f64 v[184:185], v[84:85], v[114:115]
	v_fma_f64 v[2:3], v[120:121], s[18:19], v[2:3]
	v_add_f64 v[84:85], v[8:9], -v[52:53]
	v_add_f64 v[120:121], v[22:23], -v[42:43]
	v_add_f64 v[190:191], v[76:77], v[116:117]
	v_fma_f64 v[76:77], v[122:123], s[18:19], v[0:1]
	v_fma_f64 v[0:1], v[122:123], s[18:19], -v[0:1]
	v_mul_f64 v[78:79], v[112:113], s[22:23]
	v_add_f64 v[194:195], v[2:3], v[80:81]
	v_add_f64 v[80:81], v[12:13], v[48:49]
	v_add_f64 v[116:117], v[20:21], -v[40:41]
	v_mul_f64 v[108:109], v[120:121], s[28:29]
	v_mul_f64 v[122:123], v[130:131], s[34:35]
	v_add_f64 v[192:193], v[76:77], v[118:119]
	v_add_f64 v[76:77], v[8:9], v[52:53]
	;; [unrolled: 1-line block ×3, first 2 shown]
	v_mul_f64 v[82:83], v[84:85], s[22:23]
	v_fma_f64 v[88:89], v[80:81], s[12:13], v[86:87]
	v_mul_f64 v[114:115], v[116:117], s[28:29]
	v_fma_f64 v[0:1], v[76:77], s[2:3], v[78:79]
	v_fma_f64 v[2:3], v[94:95], s[2:3], -v[82:83]
	v_add_f64 v[0:1], v[4:5], v[0:1]
	v_add_f64 v[2:3], v[6:7], v[2:3]
	;; [unrolled: 1-line block ×3, first 2 shown]
	v_fma_f64 v[88:89], v[128:129], s[12:13], -v[90:91]
	v_add_f64 v[2:3], v[88:89], v[2:3]
	v_add_f64 v[88:89], v[16:17], v[44:45]
	v_fma_f64 v[100:101], v[88:89], s[18:19], v[98:99]
	v_add_f64 v[0:1], v[100:101], v[0:1]
	v_fma_f64 v[100:101], v[140:141], s[18:19], -v[102:103]
	v_add_f64 v[2:3], v[100:101], v[2:3]
	v_add_f64 v[100:101], v[20:21], v[40:41]
	v_fma_f64 v[110:111], v[100:101], s[20:21], v[108:109]
	v_add_f64 v[0:1], v[110:111], v[0:1]
	v_fma_f64 v[110:111], v[144:145], s[20:21], -v[114:115]
	v_add_f64 v[2:3], v[110:111], v[2:3]
	v_add_f64 v[110:111], v[24:25], v[36:37]
	v_fma_f64 v[118:119], v[110:111], s[26:27], v[122:123]
	v_add_f64 v[0:1], v[118:119], v[0:1]
	v_fma_f64 v[118:119], v[146:147], s[26:27], -v[124:125]
	v_add_f64 v[2:3], v[118:119], v[2:3]
	v_add_f64 v[118:119], v[28:29], v[32:33]
	v_fma_f64 v[156:157], v[118:119], s[36:37], v[132:133]
	v_add_f64 v[0:1], v[156:157], v[0:1]
	v_fma_f64 v[156:157], v[158:159], s[36:37], -v[134:135]
	v_add_f64 v[2:3], v[156:157], v[2:3]
	v_mul_lo_u16_e32 v156, 13, v232
	v_lshl_add_u32 v174, v156, 4, v177
	ds_write_b128 v174, v[56:59]
	ds_write_b128 v174, v[64:67] offset:16
	ds_write_b128 v174, v[72:75] offset:32
	;; [unrolled: 1-line block ×12, first 2 shown]
	s_and_saveexec_b64 s[52:53], s[0:1]
	s_cbranch_execz .LBB0_7
; %bb.6:
	v_mul_f64 v[56:57], v[94:95], s[36:37]
	v_mul_f64 v[62:63], v[112:113], s[38:39]
	;; [unrolled: 1-line block ×8, first 2 shown]
	v_fma_f64 v[168:169], v[84:85], s[48:49], v[56:57]
	v_fma_f64 v[182:183], v[76:77], s[36:37], v[62:63]
	;; [unrolled: 1-line block ×4, first 2 shown]
	v_fma_f64 v[62:63], v[76:77], s[36:37], -v[62:63]
	v_fma_f64 v[190:191], v[80:81], s[2:3], v[180:181]
	v_fma_f64 v[160:161], v[92:93], s[44:45], v[160:161]
	;; [unrolled: 1-line block ×3, first 2 shown]
	v_add_f64 v[168:169], v[6:7], v[168:169]
	v_add_f64 v[182:183], v[4:5], v[182:183]
	;; [unrolled: 1-line block ×3, first 2 shown]
	v_fma_f64 v[180:181], v[80:81], s[2:3], -v[180:181]
	v_add_f64 v[62:63], v[4:5], v[62:63]
	v_fma_f64 v[192:193], v[88:89], s[26:27], v[188:189]
	v_fma_f64 v[170:171], v[104:105], s[34:35], v[170:171]
	;; [unrolled: 1-line block ×3, first 2 shown]
	v_add_f64 v[168:169], v[184:185], v[168:169]
	v_mul_f64 v[184:185], v[120:121], s[50:51]
	v_add_f64 v[182:183], v[190:191], v[182:183]
	v_add_f64 v[56:57], v[160:161], v[56:57]
	;; [unrolled: 1-line block ×3, first 2 shown]
	v_fma_f64 v[60:61], v[116:117], s[50:51], v[60:61]
	v_mul_f64 v[164:165], v[158:159], s[18:19]
	v_fma_f64 v[172:173], v[126:127], s[46:47], v[58:59]
	v_add_f64 v[160:161], v[186:187], v[168:169]
	v_mul_f64 v[168:169], v[130:131], s[28:29]
	v_fma_f64 v[186:187], v[88:89], s[26:27], -v[188:189]
	v_fma_f64 v[180:181], v[100:101], s[12:13], v[184:185]
	v_add_f64 v[182:183], v[192:193], v[182:183]
	v_add_f64 v[56:57], v[170:171], v[56:57]
	v_mul_f64 v[170:171], v[142:143], s[42:43]
	v_fma_f64 v[58:59], v[126:127], s[28:29], v[58:59]
	v_add_f64 v[160:161], v[178:179], v[160:161]
	v_fma_f64 v[178:179], v[100:101], s[12:13], -v[184:185]
	v_add_f64 v[62:63], v[186:187], v[62:63]
	v_fma_f64 v[184:185], v[110:111], s[20:21], v[168:169]
	v_add_f64 v[180:181], v[180:181], v[182:183]
	v_add_f64 v[56:57], v[60:61], v[56:57]
	v_fma_f64 v[60:61], v[138:139], s[30:31], v[164:165]
	v_fma_f64 v[168:169], v[110:111], s[20:21], -v[168:169]
	v_add_f64 v[172:173], v[172:173], v[160:161]
	v_fma_f64 v[164:165], v[138:139], s[42:43], v[164:165]
	v_add_f64 v[62:63], v[178:179], v[62:63]
	v_fma_f64 v[178:179], v[118:119], s[18:19], v[170:171]
	v_add_f64 v[180:181], v[184:185], v[180:181]
	v_add_f64 v[182:183], v[58:59], v[56:57]
	v_mul_f64 v[184:185], v[94:95], s[26:27]
	v_fma_f64 v[170:171], v[118:119], s[18:19], -v[170:171]
	v_add_f64 v[58:59], v[60:61], v[172:173]
	v_mul_f64 v[172:173], v[128:129], s[18:19]
	v_add_f64 v[168:169], v[168:169], v[62:63]
	v_mul_f64 v[186:187], v[96:97], s[42:43]
	v_add_f64 v[56:57], v[178:179], v[180:181]
	v_add_f64 v[62:63], v[164:165], v[182:183]
	v_mul_f64 v[164:165], v[112:113], s[34:35]
	v_fma_f64 v[178:179], v[84:85], s[40:41], v[184:185]
	v_fma_f64 v[184:185], v[84:85], s[34:35], v[184:185]
	;; [unrolled: 1-line block ×3, first 2 shown]
	v_add_f64 v[60:61], v[170:171], v[168:169]
	v_mul_f64 v[170:171], v[140:141], s[12:13]
	v_mul_f64 v[192:193], v[144:145], s[36:37]
	;; [unrolled: 1-line block ×3, first 2 shown]
	v_fma_f64 v[188:189], v[76:77], s[26:27], v[164:165]
	v_add_f64 v[178:179], v[6:7], v[178:179]
	v_fma_f64 v[198:199], v[80:81], s[18:19], v[186:187]
	v_fma_f64 v[172:173], v[92:93], s[42:43], v[172:173]
	v_fma_f64 v[164:165], v[76:77], s[26:27], -v[164:165]
	v_fma_f64 v[194:195], v[104:105], s[50:51], v[170:171]
	v_mul_f64 v[200:201], v[120:121], s[48:49]
	v_fma_f64 v[202:203], v[88:89], s[12:13], v[196:197]
	v_add_f64 v[188:189], v[4:5], v[188:189]
	v_add_f64 v[178:179], v[182:183], v[178:179]
	;; [unrolled: 1-line block ×3, first 2 shown]
	v_fma_f64 v[184:185], v[116:117], s[38:39], v[192:193]
	v_fma_f64 v[170:171], v[104:105], s[24:25], v[170:171]
	v_fma_f64 v[186:187], v[80:81], s[18:19], -v[186:187]
	v_add_f64 v[164:165], v[4:5], v[164:165]
	v_mul_f64 v[180:181], v[146:147], s[2:3]
	v_add_f64 v[188:189], v[198:199], v[188:189]
	v_add_f64 v[178:179], v[194:195], v[178:179]
	;; [unrolled: 1-line block ×3, first 2 shown]
	v_mul_f64 v[182:183], v[130:131], s[44:45]
	v_fma_f64 v[194:195], v[100:101], s[36:37], v[200:201]
	v_mul_f64 v[168:169], v[158:159], s[20:21]
	v_add_f64 v[164:165], v[186:187], v[164:165]
	v_fma_f64 v[190:191], v[126:127], s[22:23], v[180:181]
	v_add_f64 v[188:189], v[202:203], v[188:189]
	v_add_f64 v[178:179], v[184:185], v[178:179]
	v_fma_f64 v[184:185], v[116:117], s[48:49], v[192:193]
	v_add_f64 v[170:171], v[170:171], v[172:173]
	v_fma_f64 v[192:193], v[88:89], s[12:13], -v[196:197]
	v_mul_f64 v[172:173], v[142:143], s[28:29]
	v_fma_f64 v[186:187], v[110:111], s[2:3], v[182:183]
	v_fma_f64 v[180:181], v[126:127], s[44:45], v[180:181]
	v_add_f64 v[188:189], v[194:195], v[188:189]
	v_fma_f64 v[194:195], v[138:139], s[46:47], v[168:169]
	v_add_f64 v[178:179], v[190:191], v[178:179]
	v_add_f64 v[170:171], v[184:185], v[170:171]
	v_fma_f64 v[184:185], v[100:101], s[36:37], -v[200:201]
	v_add_f64 v[164:165], v[192:193], v[164:165]
	v_fma_f64 v[190:191], v[118:119], s[20:21], v[172:173]
	v_mul_f64 v[192:193], v[94:95], s[20:21]
	v_add_f64 v[186:187], v[186:187], v[188:189]
	v_fma_f64 v[188:189], v[138:139], s[28:29], v[168:169]
	v_mul_f64 v[202:203], v[106:107], s[44:45]
	v_add_f64 v[180:181], v[180:181], v[170:171]
	v_add_f64 v[170:171], v[194:195], v[178:179]
	;; [unrolled: 1-line block ×3, first 2 shown]
	v_mul_f64 v[184:185], v[112:113], s[28:29]
	v_fma_f64 v[178:179], v[110:111], s[2:3], -v[182:183]
	v_mul_f64 v[182:183], v[128:129], s[26:27]
	v_add_f64 v[168:169], v[190:191], v[186:187]
	v_fma_f64 v[186:187], v[84:85], s[46:47], v[192:193]
	v_mul_f64 v[190:191], v[96:97], s[40:41]
	v_add_f64 v[180:181], v[188:189], v[180:181]
	v_mul_f64 v[188:189], v[140:141], s[2:3]
	v_fma_f64 v[194:195], v[76:77], s[20:21], v[184:185]
	v_add_f64 v[164:165], v[178:179], v[164:165]
	v_fma_f64 v[178:179], v[92:93], s[34:35], v[182:183]
	v_fma_f64 v[192:193], v[84:85], s[28:29], v[192:193]
	v_add_f64 v[186:187], v[6:7], v[186:187]
	v_fma_f64 v[204:205], v[80:81], s[26:27], v[190:191]
	v_mul_f64 v[198:199], v[144:145], s[18:19]
	v_fma_f64 v[200:201], v[104:105], s[22:23], v[188:189]
	v_add_f64 v[194:195], v[4:5], v[194:195]
	v_fma_f64 v[182:183], v[92:93], s[40:41], v[182:183]
	v_mul_f64 v[208:209], v[120:121], s[30:31]
	v_add_f64 v[192:193], v[6:7], v[192:193]
	v_add_f64 v[178:179], v[178:179], v[186:187]
	v_fma_f64 v[210:211], v[88:89], s[2:3], v[202:203]
	v_fma_f64 v[184:185], v[76:77], s[20:21], -v[184:185]
	v_mul_f64 v[186:187], v[146:147], s[36:37]
	v_add_f64 v[194:195], v[204:205], v[194:195]
	v_fma_f64 v[206:207], v[116:117], s[42:43], v[198:199]
	v_fma_f64 v[188:189], v[104:105], s[44:45], v[188:189]
	v_add_f64 v[182:183], v[182:183], v[192:193]
	v_add_f64 v[178:179], v[200:201], v[178:179]
	v_mul_f64 v[192:193], v[130:131], s[48:49]
	v_fma_f64 v[204:205], v[100:101], s[18:19], v[208:209]
	v_fma_f64 v[190:191], v[80:81], s[26:27], -v[190:191]
	v_add_f64 v[194:195], v[210:211], v[194:195]
	v_add_f64 v[184:185], v[4:5], v[184:185]
	v_mul_f64 v[196:197], v[158:159], s[12:13]
	v_fma_f64 v[200:201], v[126:127], s[38:39], v[186:187]
	v_add_f64 v[178:179], v[206:207], v[178:179]
	v_fma_f64 v[198:199], v[116:117], s[30:31], v[198:199]
	v_add_f64 v[182:183], v[188:189], v[182:183]
	;; [unrolled: 2-line block ×3, first 2 shown]
	v_fma_f64 v[202:203], v[88:89], s[2:3], -v[202:203]
	v_add_f64 v[184:185], v[190:191], v[184:185]
	v_fma_f64 v[172:173], v[118:119], s[20:21], -v[172:173]
	v_mul_f64 v[206:207], v[142:143], s[50:51]
	v_fma_f64 v[204:205], v[138:139], s[24:25], v[196:197]
	v_fma_f64 v[186:187], v[126:127], s[48:49], v[186:187]
	v_add_f64 v[182:183], v[198:199], v[182:183]
	v_add_f64 v[190:191], v[200:201], v[178:179]
	;; [unrolled: 1-line block ×3, first 2 shown]
	v_fma_f64 v[194:195], v[138:139], s[50:51], v[196:197]
	v_fma_f64 v[196:197], v[100:101], s[18:19], -v[208:209]
	v_mul_f64 v[200:201], v[94:95], s[18:19]
	v_add_f64 v[202:203], v[202:203], v[184:185]
	v_fma_f64 v[198:199], v[118:119], s[12:13], v[206:207]
	v_add_f64 v[186:187], v[186:187], v[182:183]
	v_add_f64 v[178:179], v[172:173], v[164:165]
	;; [unrolled: 1-line block ×3, first 2 shown]
	v_mul_f64 v[164:165], v[128:129], s[36:37]
	v_fma_f64 v[172:173], v[110:111], s[36:37], -v[192:193]
	v_fma_f64 v[190:191], v[84:85], s[42:43], v[200:201]
	v_add_f64 v[192:193], v[196:197], v[202:203]
	v_mul_f64 v[202:203], v[112:113], s[30:31]
	v_add_f64 v[182:183], v[198:199], v[188:189]
	v_add_f64 v[188:189], v[194:195], v[186:187]
	v_mul_f64 v[186:187], v[140:141], s[20:21]
	v_fma_f64 v[198:199], v[92:93], s[48:49], v[164:165]
	v_fma_f64 v[200:201], v[84:85], s[30:31], v[200:201]
	v_add_f64 v[190:191], v[6:7], v[190:191]
	v_mul_f64 v[208:209], v[96:97], s[38:39]
	v_fma_f64 v[210:211], v[76:77], s[18:19], v[202:203]
	v_fma_f64 v[196:197], v[118:119], s[12:13], -v[206:207]
	v_add_f64 v[172:173], v[172:173], v[192:193]
	v_mul_f64 v[192:193], v[144:145], s[2:3]
	v_fma_f64 v[206:207], v[104:105], s[28:29], v[186:187]
	v_mul_f64 v[214:215], v[106:107], s[46:47]
	v_add_f64 v[190:191], v[198:199], v[190:191]
	v_fma_f64 v[164:165], v[92:93], s[38:39], v[164:165]
	v_add_f64 v[200:201], v[6:7], v[200:201]
	v_fma_f64 v[216:217], v[80:81], s[36:37], v[208:209]
	v_add_f64 v[210:211], v[4:5], v[210:211]
	v_add_f64 v[10:11], v[6:7], v[10:11]
	;; [unrolled: 1-line block ×3, first 2 shown]
	v_mul_f64 v[198:199], v[146:147], s[12:13]
	v_fma_f64 v[212:213], v[116:117], s[22:23], v[192:193]
	v_add_f64 v[190:191], v[206:207], v[190:191]
	v_mul_f64 v[218:219], v[120:121], s[44:45]
	v_fma_f64 v[186:187], v[104:105], s[46:47], v[186:187]
	v_add_f64 v[164:165], v[164:165], v[200:201]
	v_fma_f64 v[200:201], v[88:89], s[20:21], v[214:215]
	v_add_f64 v[210:211], v[216:217], v[210:211]
	v_add_f64 v[10:11], v[10:11], v[14:15]
	;; [unrolled: 1-line block ×3, first 2 shown]
	v_mul_f64 v[194:195], v[158:159], s[26:27]
	v_fma_f64 v[206:207], v[126:127], s[50:51], v[198:199]
	v_add_f64 v[190:191], v[212:213], v[190:191]
	v_mul_f64 v[212:213], v[130:131], s[24:25]
	v_fma_f64 v[192:193], v[116:117], s[44:45], v[192:193]
	v_add_f64 v[164:165], v[186:187], v[164:165]
	v_fma_f64 v[186:187], v[100:101], s[2:3], v[218:219]
	v_add_f64 v[200:201], v[200:201], v[210:211]
	v_add_f64 v[10:11], v[10:11], v[18:19]
	v_add_f64 v[8:9], v[8:9], v[16:17]
	v_fma_f64 v[204:205], v[138:139], s[40:41], v[194:195]
	v_fma_f64 v[202:203], v[76:77], s[18:19], -v[202:203]
	v_add_f64 v[190:191], v[206:207], v[190:191]
	v_fma_f64 v[198:199], v[126:127], s[24:25], v[198:199]
	v_add_f64 v[164:165], v[192:193], v[164:165]
	v_fma_f64 v[210:211], v[110:111], s[12:13], v[212:213]
	v_add_f64 v[200:201], v[186:187], v[200:201]
	v_add_f64 v[10:11], v[10:11], v[22:23]
	;; [unrolled: 1-line block ×3, first 2 shown]
	v_fma_f64 v[208:209], v[80:81], s[36:37], -v[208:209]
	v_add_f64 v[202:203], v[4:5], v[202:203]
	v_add_f64 v[192:193], v[204:205], v[190:191]
	v_fma_f64 v[190:191], v[138:139], s[34:35], v[194:195]
	v_add_f64 v[164:165], v[198:199], v[164:165]
	v_add_f64 v[198:199], v[210:211], v[200:201]
	v_mul_f64 v[200:201], v[94:95], s[12:13]
	v_add_f64 v[10:11], v[10:11], v[26:27]
	v_add_f64 v[8:9], v[8:9], v[24:25]
	v_mul_f64 v[152:153], v[76:77], s[2:3]
	v_mul_f64 v[156:157], v[94:95], s[2:3]
	;; [unrolled: 1-line block ×3, first 2 shown]
	v_add_f64 v[202:203], v[208:209], v[202:203]
	v_mul_f64 v[208:209], v[142:143], s[34:35]
	v_add_f64 v[94:95], v[190:191], v[164:165]
	v_mul_f64 v[128:129], v[128:129], s[20:21]
	v_fma_f64 v[190:191], v[84:85], s[50:51], v[200:201]
	v_mul_f64 v[112:113], v[112:113], s[24:25]
	v_add_f64 v[10:11], v[10:11], v[30:31]
	v_add_f64 v[8:9], v[8:9], v[28:29]
	v_mul_f64 v[150:151], v[80:81], s[12:13]
	v_fma_f64 v[84:85], v[84:85], s[24:25], v[200:201]
	v_mul_f64 v[96:97], v[96:97], s[28:29]
	v_add_f64 v[82:83], v[82:83], v[156:157]
	v_add_f64 v[28:29], v[152:153], -v[78:79]
	v_mul_f64 v[74:75], v[140:141], s[18:19]
	v_fma_f64 v[206:207], v[88:89], s[20:21], -v[214:215]
	v_fma_f64 v[194:195], v[118:119], s[26:27], v[208:209]
	v_fma_f64 v[164:165], v[118:119], s[26:27], -v[208:209]
	v_mul_f64 v[140:141], v[140:141], s[36:37]
	v_fma_f64 v[204:205], v[92:93], s[46:47], v[128:129]
	v_add_f64 v[190:191], v[6:7], v[190:191]
	v_fma_f64 v[208:209], v[76:77], s[12:13], v[112:113]
	v_fma_f64 v[30:31], v[76:77], s[12:13], -v[112:113]
	v_add_f64 v[10:11], v[10:11], v[34:35]
	v_add_f64 v[8:9], v[8:9], v[32:33]
	v_mul_f64 v[72:73], v[88:89], s[18:19]
	v_add_f64 v[84:85], v[6:7], v[84:85]
	v_fma_f64 v[14:15], v[80:81], s[20:21], v[96:97]
	v_fma_f64 v[76:77], v[80:81], s[20:21], -v[96:97]
	v_add_f64 v[78:79], v[90:91], v[154:155]
	v_add_f64 v[6:7], v[6:7], v[82:83]
	v_add_f64 v[80:81], v[150:151], -v[86:87]
	v_add_f64 v[28:29], v[4:5], v[28:29]
	v_mul_f64 v[68:69], v[144:145], s[20:21]
	v_add_f64 v[186:187], v[196:197], v[172:173]
	v_fma_f64 v[172:173], v[100:101], s[2:3], -v[218:219]
	v_add_f64 v[196:197], v[206:207], v[202:203]
	v_mul_f64 v[144:145], v[144:145], s[26:27]
	v_fma_f64 v[200:201], v[104:105], s[48:49], v[140:141]
	v_add_f64 v[190:191], v[204:205], v[190:191]
	v_fma_f64 v[92:93], v[92:93], s[28:29], v[128:129]
	v_mul_f64 v[12:13], v[106:107], s[38:39]
	v_add_f64 v[106:107], v[4:5], v[208:209]
	v_add_f64 v[4:5], v[4:5], v[30:31]
	;; [unrolled: 1-line block ×4, first 2 shown]
	v_mul_f64 v[66:67], v[100:101], s[20:21]
	v_add_f64 v[30:31], v[102:103], v[74:75]
	v_add_f64 v[6:7], v[78:79], v[6:7]
	v_add_f64 v[32:33], v[72:73], -v[98:99]
	v_add_f64 v[28:29], v[80:81], v[28:29]
	v_mul_f64 v[148:149], v[146:147], s[26:27]
	v_fma_f64 v[202:203], v[110:111], s[12:13], -v[212:213]
	v_add_f64 v[172:173], v[172:173], v[196:197]
	v_mul_f64 v[146:147], v[146:147], s[18:19]
	v_fma_f64 v[206:207], v[116:117], s[34:35], v[144:145]
	v_add_f64 v[128:129], v[200:201], v[190:191]
	v_fma_f64 v[104:105], v[104:105], s[38:39], v[140:141]
	v_add_f64 v[84:85], v[92:93], v[84:85]
	v_mul_f64 v[16:17], v[120:121], s[40:41]
	v_fma_f64 v[18:19], v[88:89], s[36:37], v[12:13]
	v_fma_f64 v[12:13], v[88:89], s[36:37], -v[12:13]
	v_add_f64 v[4:5], v[76:77], v[4:5]
	v_add_f64 v[14:15], v[14:15], v[106:107]
	;; [unrolled: 1-line block ×4, first 2 shown]
	v_mul_f64 v[64:65], v[110:111], s[26:27]
	v_mul_f64 v[20:21], v[130:131], s[42:43]
	v_add_f64 v[34:35], v[114:115], v[68:69]
	v_add_f64 v[6:7], v[30:31], v[6:7]
	v_add_f64 v[30:31], v[66:67], -v[108:109]
	v_add_f64 v[28:29], v[32:33], v[28:29]
	v_add_f64 v[172:173], v[202:203], v[172:173]
	v_fma_f64 v[202:203], v[126:127], s[30:31], v[146:147]
	v_add_f64 v[92:93], v[206:207], v[128:129]
	v_fma_f64 v[106:107], v[116:117], s[40:41], v[144:145]
	;; [unrolled: 2-line block ×3, first 2 shown]
	v_fma_f64 v[16:17], v[100:101], s[26:27], -v[16:17]
	v_add_f64 v[4:5], v[12:13], v[4:5]
	v_add_f64 v[14:15], v[18:19], v[14:15]
	;; [unrolled: 1-line block ×4, first 2 shown]
	v_mul_f64 v[70:71], v[118:119], s[36:37]
	v_mul_f64 v[160:161], v[158:159], s[36:37]
	v_fma_f64 v[26:27], v[110:111], s[18:19], v[20:21]
	v_fma_f64 v[12:13], v[110:111], s[18:19], -v[20:21]
	v_add_f64 v[20:21], v[124:125], v[148:149]
	v_add_f64 v[6:7], v[34:35], v[6:7]
	v_add_f64 v[32:33], v[64:65], -v[122:123]
	v_add_f64 v[28:29], v[30:31], v[28:29]
	v_mul_f64 v[158:159], v[158:159], s[2:3]
	v_add_f64 v[18:19], v[202:203], v[92:93]
	v_fma_f64 v[92:93], v[126:127], s[42:43], v[146:147]
	v_add_f64 v[84:85], v[106:107], v[84:85]
	v_mul_f64 v[24:25], v[142:143], s[44:45]
	v_add_f64 v[4:5], v[16:17], v[4:5]
	v_add_f64 v[14:15], v[22:23], v[14:15]
	;; [unrolled: 1-line block ×6, first 2 shown]
	v_add_f64 v[34:35], v[70:71], -v[132:133]
	v_add_f64 v[28:29], v[32:33], v[28:29]
	v_fma_f64 v[22:23], v[138:139], s[44:45], v[158:159]
	v_add_f64 v[84:85], v[92:93], v[84:85]
	v_fma_f64 v[16:17], v[118:119], s[2:3], -v[24:25]
	v_add_f64 v[4:5], v[12:13], v[4:5]
	v_fma_f64 v[196:197], v[138:139], s[22:23], v[158:159]
	v_fma_f64 v[24:25], v[118:119], s[2:3], v[24:25]
	v_add_f64 v[26:27], v[26:27], v[14:15]
	v_add_f64 v[14:15], v[36:37], v[54:55]
	;; [unrolled: 1-line block ×8, first 2 shown]
	v_lshl_add_u32 v20, v175, 4, v177
	v_add_f64 v[190:191], v[194:195], v[198:199]
	v_add_f64 v[18:19], v[196:197], v[18:19]
	;; [unrolled: 1-line block ×3, first 2 shown]
	ds_write_b128 v20, v[12:15]
	ds_write_b128 v20, v[8:11] offset:16
	ds_write_b128 v20, v[4:7] offset:32
	;; [unrolled: 1-line block ×12, first 2 shown]
.LBB0_7:
	s_or_b64 exec, exec, s[52:53]
	s_movk_i32 s2, 0x4e
	v_add_co_u32_e32 v112, vcc, s2, v232
	v_addc_co_u32_e64 v113, s[2:3], 0, 0, vcc
	s_movk_i32 s2, 0x75
	v_add_co_u32_e32 v110, vcc, s2, v232
	v_addc_co_u32_e64 v111, s[2:3], 0, 0, vcc
	;; [unrolled: 3-line block ×3, first 2 shown]
	s_movk_i32 s2, 0x4f
	v_mul_lo_u16_sdwa v28, v232, s2 dst_sel:DWORD dst_unused:UNUSED_PAD src0_sel:BYTE_0 src1_sel:DWORD
	v_lshrrev_b16_e32 v156, 10, v28
	v_mul_lo_u16_e32 v28, 13, v156
	v_sub_u16_e32 v157, v232, v28
	v_mov_b32_e32 v116, 6
	v_lshlrev_b32_sdwa v28, v116, v157 dst_sel:DWORD dst_unused:UNUSED_PAD src0_sel:DWORD src1_sel:BYTE_0
	s_waitcnt lgkmcnt(0)
	s_barrier
	ds_read_b128 v[30:33], v176
	ds_read_b128 v[74:77], v176 offset:3120
	ds_read_b128 v[78:81], v176 offset:6240
	;; [unrolled: 1-line block ×24, first 2 shown]
	global_load_dwordx4 v[117:120], v28, s[4:5] offset:48
	global_load_dwordx4 v[121:124], v28, s[4:5] offset:32
	;; [unrolled: 1-line block ×3, first 2 shown]
	global_load_dwordx4 v[129:132], v28, s[4:5]
	s_mov_b32 s18, 0x134454ff
	s_mov_b32 s19, 0x3fee6f0e
	;; [unrolled: 1-line block ×8, first 2 shown]
	s_waitcnt vmcnt(0) lgkmcnt(14)
	v_mul_f64 v[28:29], v[76:77], v[131:132]
	v_fma_f64 v[148:149], v[74:75], v[129:130], -v[28:29]
	v_mul_f64 v[28:29], v[74:75], v[131:132]
	buffer_store_dword v129, off, s[56:59], 0 offset:160 ; 4-byte Folded Spill
	s_nop 0
	buffer_store_dword v130, off, s[56:59], 0 offset:164 ; 4-byte Folded Spill
	buffer_store_dword v131, off, s[56:59], 0 offset:168 ; 4-byte Folded Spill
	buffer_store_dword v132, off, s[56:59], 0 offset:172 ; 4-byte Folded Spill
	v_fma_f64 v[140:141], v[76:77], v[129:130], v[28:29]
	v_mul_f64 v[28:29], v[80:81], v[127:128]
	v_fma_f64 v[150:151], v[78:79], v[125:126], -v[28:29]
	v_mul_f64 v[28:29], v[78:79], v[127:128]
	buffer_store_dword v125, off, s[56:59], 0 offset:144 ; 4-byte Folded Spill
	s_nop 0
	buffer_store_dword v126, off, s[56:59], 0 offset:148 ; 4-byte Folded Spill
	buffer_store_dword v127, off, s[56:59], 0 offset:152 ; 4-byte Folded Spill
	buffer_store_dword v128, off, s[56:59], 0 offset:156 ; 4-byte Folded Spill
	v_fma_f64 v[142:143], v[80:81], v[125:126], v[28:29]
	;; [unrolled: 9-line block ×4, first 2 shown]
	v_mul_lo_u16_sdwa v28, v162, s2 dst_sel:DWORD dst_unused:UNUSED_PAD src0_sel:BYTE_0 src1_sel:DWORD
	v_lshrrev_b16_e32 v158, 10, v28
	v_mul_lo_u16_e32 v28, 13, v158
	v_sub_u16_e32 v159, v162, v28
	v_lshlrev_b32_sdwa v28, v116, v159 dst_sel:DWORD dst_unused:UNUSED_PAD src0_sel:DWORD src1_sel:BYTE_0
	global_load_dwordx4 v[74:77], v28, s[4:5] offset:48
	global_load_dwordx4 v[78:81], v28, s[4:5] offset:32
	;; [unrolled: 1-line block ×3, first 2 shown]
	global_load_dwordx4 v[86:89], v28, s[4:5]
	s_waitcnt vmcnt(0)
	v_mul_f64 v[28:29], v[92:93], v[88:89]
	v_fma_f64 v[130:131], v[90:91], v[86:87], -v[28:29]
	v_mul_f64 v[28:29], v[90:91], v[88:89]
	buffer_store_dword v86, off, s[56:59], 0 offset:224 ; 4-byte Folded Spill
	s_nop 0
	buffer_store_dword v87, off, s[56:59], 0 offset:228 ; 4-byte Folded Spill
	buffer_store_dword v88, off, s[56:59], 0 offset:232 ; 4-byte Folded Spill
	buffer_store_dword v89, off, s[56:59], 0 offset:236 ; 4-byte Folded Spill
	v_fma_f64 v[90:91], v[92:93], v[86:87], v[28:29]
	v_mul_f64 v[28:29], v[96:97], v[84:85]
	v_fma_f64 v[132:133], v[94:95], v[82:83], -v[28:29]
	v_mul_f64 v[28:29], v[94:95], v[84:85]
	buffer_store_dword v82, off, s[56:59], 0 offset:208 ; 4-byte Folded Spill
	s_nop 0
	buffer_store_dword v83, off, s[56:59], 0 offset:212 ; 4-byte Folded Spill
	buffer_store_dword v84, off, s[56:59], 0 offset:216 ; 4-byte Folded Spill
	buffer_store_dword v85, off, s[56:59], 0 offset:220 ; 4-byte Folded Spill
	v_fma_f64 v[124:125], v[96:97], v[82:83], v[28:29]
	;; [unrolled: 9-line block ×4, first 2 shown]
	v_mul_lo_u16_sdwa v28, v112, s2 dst_sel:DWORD dst_unused:UNUSED_PAD src0_sel:BYTE_0 src1_sel:DWORD
	v_lshrrev_b16_e32 v160, 10, v28
	v_mul_lo_u16_e32 v28, 13, v160
	v_sub_u16_e32 v161, v112, v28
	v_lshlrev_b32_sdwa v28, v116, v161 dst_sel:DWORD dst_unused:UNUSED_PAD src0_sel:DWORD src1_sel:BYTE_0
	global_load_dwordx4 v[78:81], v28, s[4:5] offset:48
	global_load_dwordx4 v[92:95], v28, s[4:5] offset:32
	;; [unrolled: 1-line block ×3, first 2 shown]
	global_load_dwordx4 v[84:87], v28, s[4:5]
	s_waitcnt vmcnt(0) lgkmcnt(13)
	v_mul_f64 v[28:29], v[72:73], v[86:87]
	v_fma_f64 v[82:83], v[70:71], v[84:85], -v[28:29]
	v_mul_f64 v[28:29], v[70:71], v[86:87]
	buffer_store_dword v84, off, s[56:59], 0 offset:288 ; 4-byte Folded Spill
	s_nop 0
	buffer_store_dword v85, off, s[56:59], 0 offset:292 ; 4-byte Folded Spill
	buffer_store_dword v86, off, s[56:59], 0 offset:296 ; 4-byte Folded Spill
	;; [unrolled: 1-line block ×3, first 2 shown]
	v_fma_f64 v[72:73], v[72:73], v[84:85], v[28:29]
	s_waitcnt lgkmcnt(12)
	v_mul_f64 v[28:29], v[68:69], v[76:77]
	v_fma_f64 v[86:87], v[66:67], v[74:75], -v[28:29]
	v_mul_f64 v[28:29], v[66:67], v[76:77]
	buffer_store_dword v74, off, s[56:59], 0 offset:272 ; 4-byte Folded Spill
	s_nop 0
	buffer_store_dword v75, off, s[56:59], 0 offset:276 ; 4-byte Folded Spill
	buffer_store_dword v76, off, s[56:59], 0 offset:280 ; 4-byte Folded Spill
	buffer_store_dword v77, off, s[56:59], 0 offset:284 ; 4-byte Folded Spill
	v_add_f64 v[66:67], v[82:83], -v[86:87]
	v_fma_f64 v[74:75], v[68:69], v[74:75], v[28:29]
	s_waitcnt lgkmcnt(11)
	v_mul_f64 v[28:29], v[64:65], v[94:95]
	v_fma_f64 v[68:69], v[62:63], v[92:93], -v[28:29]
	v_mul_f64 v[28:29], v[62:63], v[94:95]
	buffer_store_dword v92, off, s[56:59], 0 offset:256 ; 4-byte Folded Spill
	s_nop 0
	buffer_store_dword v93, off, s[56:59], 0 offset:260 ; 4-byte Folded Spill
	buffer_store_dword v94, off, s[56:59], 0 offset:264 ; 4-byte Folded Spill
	buffer_store_dword v95, off, s[56:59], 0 offset:268 ; 4-byte Folded Spill
	v_add_f64 v[62:63], v[126:127], -v[128:129]
	;; [unrolled: 11-line block ×3, first 2 shown]
	v_add_f64 v[70:71], v[66:67], v[70:71]
	v_fma_f64 v[78:79], v[60:61], v[78:79], v[28:29]
	v_mul_lo_u16_sdwa v28, v110, s2 dst_sel:DWORD dst_unused:UNUSED_PAD src0_sel:BYTE_0 src1_sel:DWORD
	v_lshrrev_b16_e32 v164, 10, v28
	v_mul_lo_u16_e32 v28, 13, v164
	v_sub_u16_e32 v165, v110, v28
	v_lshlrev_b32_sdwa v28, v116, v165 dst_sel:DWORD dst_unused:UNUSED_PAD src0_sel:DWORD src1_sel:BYTE_0
	global_load_dwordx4 v[58:61], v28, s[4:5] offset:48
	global_load_dwordx4 v[94:97], v28, s[4:5] offset:32
	;; [unrolled: 1-line block ×3, first 2 shown]
	global_load_dwordx4 v[102:105], v28, s[4:5]
	s_waitcnt vmcnt(0) lgkmcnt(8)
	v_mul_f64 v[28:29], v[56:57], v[104:105]
	v_fma_f64 v[80:81], v[54:55], v[102:103], -v[28:29]
	v_mul_f64 v[28:29], v[54:55], v[104:105]
	buffer_store_dword v102, off, s[56:59], 0 offset:352 ; 4-byte Folded Spill
	s_nop 0
	buffer_store_dword v103, off, s[56:59], 0 offset:356 ; 4-byte Folded Spill
	buffer_store_dword v104, off, s[56:59], 0 offset:360 ; 4-byte Folded Spill
	buffer_store_dword v105, off, s[56:59], 0 offset:364 ; 4-byte Folded Spill
	v_fma_f64 v[88:89], v[56:57], v[102:103], v[28:29]
	s_waitcnt lgkmcnt(7)
	v_mul_f64 v[28:29], v[52:53], v[100:101]
	v_fma_f64 v[84:85], v[50:51], v[98:99], -v[28:29]
	v_mul_f64 v[28:29], v[50:51], v[100:101]
	buffer_store_dword v98, off, s[56:59], 0 offset:336 ; 4-byte Folded Spill
	s_nop 0
	buffer_store_dword v99, off, s[56:59], 0 offset:340 ; 4-byte Folded Spill
	buffer_store_dword v100, off, s[56:59], 0 offset:344 ; 4-byte Folded Spill
	buffer_store_dword v101, off, s[56:59], 0 offset:348 ; 4-byte Folded Spill
	v_fma_f64 v[92:93], v[52:53], v[98:99], v[28:29]
	s_waitcnt lgkmcnt(6)
	;; [unrolled: 10-line block ×3, first 2 shown]
	v_mul_f64 v[28:29], v[44:45], v[60:61]
	v_fma_f64 v[114:115], v[42:43], v[58:59], -v[28:29]
	v_mul_f64 v[28:29], v[42:43], v[60:61]
	buffer_store_dword v58, off, s[56:59], 0 offset:304 ; 4-byte Folded Spill
	s_nop 0
	buffer_store_dword v59, off, s[56:59], 0 offset:308 ; 4-byte Folded Spill
	buffer_store_dword v60, off, s[56:59], 0 offset:312 ; 4-byte Folded Spill
	;; [unrolled: 1-line block ×3, first 2 shown]
	v_add_f64 v[60:61], v[132:133], -v[134:135]
	v_fma_f64 v[96:97], v[44:45], v[58:59], v[28:29]
	v_mul_lo_u16_sdwa v28, v108, s2 dst_sel:DWORD dst_unused:UNUSED_PAD src0_sel:BYTE_0 src1_sel:DWORD
	v_lshrrev_b16_e32 v168, 10, v28
	v_mul_lo_u16_e32 v28, 13, v168
	v_sub_u16_e32 v169, v108, v28
	v_lshlrev_b32_sdwa v28, v116, v169 dst_sel:DWORD dst_unused:UNUSED_PAD src0_sel:DWORD src1_sel:BYTE_0
	global_load_dwordx4 v[42:45], v28, s[4:5] offset:48
	global_load_dwordx4 v[46:49], v28, s[4:5] offset:32
	global_load_dwordx4 v[50:53], v28, s[4:5] offset:16
	global_load_dwordx4 v[54:57], v28, s[4:5]
	s_mov_b32 s2, 0x372fe950
	s_mov_b32 s3, 0x3fd3c6ef
	v_add_f64 v[58:59], v[130:131], -v[138:139]
	s_waitcnt vmcnt(0) lgkmcnt(3)
	v_mul_f64 v[28:29], v[40:41], v[56:57]
	v_fma_f64 v[116:117], v[38:39], v[54:55], -v[28:29]
	v_mul_f64 v[28:29], v[38:39], v[56:57]
	buffer_store_dword v54, off, s[56:59], 0 offset:416 ; 4-byte Folded Spill
	s_nop 0
	buffer_store_dword v55, off, s[56:59], 0 offset:420 ; 4-byte Folded Spill
	buffer_store_dword v56, off, s[56:59], 0 offset:424 ; 4-byte Folded Spill
	;; [unrolled: 1-line block ×3, first 2 shown]
	v_add_f64 v[38:39], v[152:153], -v[154:155]
	v_add_f64 v[56:57], v[128:129], -v[126:127]
	v_fma_f64 v[98:99], v[40:41], v[54:55], v[28:29]
	s_waitcnt lgkmcnt(2)
	v_mul_f64 v[28:29], v[36:37], v[52:53]
	v_add_f64 v[40:41], v[140:141], -v[142:143]
	v_add_f64 v[54:55], v[134:135], -v[138:139]
	v_fma_f64 v[118:119], v[34:35], v[50:51], -v[28:29]
	v_mul_f64 v[28:29], v[34:35], v[52:53]
	buffer_store_dword v50, off, s[56:59], 0 offset:400 ; 4-byte Folded Spill
	s_nop 0
	buffer_store_dword v51, off, s[56:59], 0 offset:404 ; 4-byte Folded Spill
	buffer_store_dword v52, off, s[56:59], 0 offset:408 ; 4-byte Folded Spill
	;; [unrolled: 1-line block ×3, first 2 shown]
	v_add_f64 v[34:35], v[142:143], -v[144:145]
	v_add_f64 v[52:53], v[138:139], -v[134:135]
	v_fma_f64 v[100:101], v[36:37], v[50:51], v[28:29]
	s_waitcnt lgkmcnt(1)
	v_mul_f64 v[28:29], v[26:27], v[48:49]
	v_add_f64 v[36:37], v[154:155], -v[152:153]
	v_add_f64 v[50:51], v[130:131], -v[132:133]
	v_fma_f64 v[120:121], v[24:25], v[46:47], -v[28:29]
	v_mul_f64 v[24:25], v[24:25], v[48:49]
	buffer_store_dword v46, off, s[56:59], 0 offset:384 ; 4-byte Folded Spill
	s_nop 0
	buffer_store_dword v47, off, s[56:59], 0 offset:388 ; 4-byte Folded Spill
	buffer_store_dword v48, off, s[56:59], 0 offset:392 ; 4-byte Folded Spill
	;; [unrolled: 1-line block ×3, first 2 shown]
	v_add_f64 v[28:29], v[148:149], -v[150:151]
	v_add_f64 v[48:49], v[124:125], -v[126:127]
	v_add_f64 v[52:53], v[50:51], v[52:53]
	v_add_f64 v[36:37], v[28:29], v[36:37]
	v_fma_f64 v[102:103], v[26:27], v[46:47], v[24:25]
	s_waitcnt lgkmcnt(0)
	v_mul_f64 v[24:25], v[22:23], v[44:45]
	v_add_f64 v[26:27], v[140:141], -v[146:147]
	v_add_f64 v[46:47], v[144:145], -v[146:147]
	v_fma_f64 v[122:123], v[20:21], v[42:43], -v[24:25]
	v_mul_f64 v[20:21], v[20:21], v[44:45]
	buffer_store_dword v42, off, s[56:59], 0 offset:368 ; 4-byte Folded Spill
	s_nop 0
	buffer_store_dword v43, off, s[56:59], 0 offset:372 ; 4-byte Folded Spill
	buffer_store_dword v44, off, s[56:59], 0 offset:376 ; 4-byte Folded Spill
	;; [unrolled: 1-line block ×3, first 2 shown]
	v_add_f64 v[44:45], v[146:147], -v[144:145]
	s_waitcnt vmcnt(0)
	s_barrier
	v_add_f64 v[40:41], v[40:41], v[44:45]
	v_add_f64 v[44:45], v[142:143], -v[140:141]
	v_add_f64 v[44:45], v[44:45], v[46:47]
	v_fma_f64 v[104:105], v[22:23], v[42:43], v[20:21]
	v_add_f64 v[22:23], v[150:151], v[152:153]
	v_add_f64 v[20:21], v[30:31], v[148:149]
	v_add_f64 v[42:43], v[150:151], -v[152:153]
	v_fma_f64 v[22:23], v[22:23], -0.5, v[30:31]
	v_add_f64 v[20:21], v[20:21], v[150:151]
	v_fma_f64 v[24:25], v[26:27], s[18:19], v[22:23]
	v_fma_f64 v[22:23], v[26:27], s[20:21], v[22:23]
	v_add_f64 v[20:21], v[20:21], v[152:153]
	v_fma_f64 v[24:25], v[34:35], s[12:13], v[24:25]
	v_fma_f64 v[22:23], v[34:35], s[22:23], v[22:23]
	;; [unrolled: 3-line block ×3, first 2 shown]
	v_add_f64 v[22:23], v[148:149], v[154:155]
	v_add_f64 v[36:37], v[150:151], -v[148:149]
	v_fma_f64 v[22:23], v[22:23], -0.5, v[30:31]
	v_add_f64 v[36:37], v[36:37], v[38:39]
	v_fma_f64 v[30:31], v[34:35], s[20:21], v[22:23]
	v_fma_f64 v[22:23], v[34:35], s[18:19], v[22:23]
	;; [unrolled: 1-line block ×4, first 2 shown]
	v_add_f64 v[26:27], v[142:143], v[144:145]
	v_fma_f64 v[38:39], v[36:37], s[2:3], v[30:31]
	v_fma_f64 v[34:35], v[36:37], s[2:3], v[22:23]
	v_fma_f64 v[26:27], v[26:27], -0.5, v[32:33]
	v_add_f64 v[36:37], v[148:149], -v[154:155]
	v_add_f64 v[22:23], v[32:33], v[140:141]
	v_fma_f64 v[30:31], v[36:37], s[20:21], v[26:27]
	v_fma_f64 v[26:27], v[36:37], s[18:19], v[26:27]
	v_add_f64 v[22:23], v[22:23], v[142:143]
	v_fma_f64 v[30:31], v[42:43], s[22:23], v[30:31]
	v_fma_f64 v[26:27], v[42:43], s[12:13], v[26:27]
	;; [unrolled: 3-line block ×3, first 2 shown]
	v_add_f64 v[40:41], v[140:141], v[146:147]
	v_add_f64 v[22:23], v[22:23], v[146:147]
	v_fma_f64 v[32:33], v[40:41], -0.5, v[32:33]
	v_fma_f64 v[40:41], v[42:43], s[18:19], v[32:33]
	v_fma_f64 v[32:33], v[42:43], s[20:21], v[32:33]
	;; [unrolled: 1-line block ×6, first 2 shown]
	v_add_f64 v[32:33], v[16:17], v[130:131]
	v_add_f64 v[44:45], v[90:91], -v[128:129]
	v_add_f64 v[32:33], v[32:33], v[132:133]
	v_add_f64 v[32:33], v[32:33], v[134:135]
	;; [unrolled: 1-line block ×4, first 2 shown]
	v_fma_f64 v[32:33], v[32:33], -0.5, v[16:17]
	v_fma_f64 v[46:47], v[44:45], s[18:19], v[32:33]
	v_fma_f64 v[32:33], v[44:45], s[20:21], v[32:33]
	;; [unrolled: 1-line block ×6, first 2 shown]
	v_add_f64 v[32:33], v[130:131], v[138:139]
	v_add_f64 v[52:53], v[132:133], -v[130:131]
	v_fma_f64 v[16:17], v[32:33], -0.5, v[16:17]
	v_add_f64 v[52:53], v[52:53], v[54:55]
	v_fma_f64 v[32:33], v[48:49], s[20:21], v[16:17]
	v_fma_f64 v[16:17], v[48:49], s[18:19], v[16:17]
	v_fma_f64 v[32:33], v[44:45], s[12:13], v[32:33]
	v_fma_f64 v[16:17], v[44:45], s[22:23], v[16:17]
	v_fma_f64 v[54:55], v[52:53], s[2:3], v[32:33]
	v_add_f64 v[32:33], v[18:19], v[90:91]
	v_fma_f64 v[16:17], v[52:53], s[2:3], v[16:17]
	v_add_f64 v[52:53], v[90:91], -v[124:125]
	v_add_f64 v[32:33], v[32:33], v[124:125]
	v_add_f64 v[56:57], v[52:53], v[56:57]
	;; [unrolled: 1-line block ×5, first 2 shown]
	v_fma_f64 v[32:33], v[32:33], -0.5, v[18:19]
	v_fma_f64 v[48:49], v[58:59], s[20:21], v[32:33]
	v_fma_f64 v[32:33], v[58:59], s[18:19], v[32:33]
	;; [unrolled: 1-line block ×6, first 2 shown]
	v_add_f64 v[32:33], v[90:91], v[128:129]
	v_add_f64 v[56:57], v[124:125], -v[90:91]
	v_add_f64 v[90:91], v[74:75], -v[76:77]
	;; [unrolled: 1-line block ×3, first 2 shown]
	v_fma_f64 v[18:19], v[32:33], -0.5, v[18:19]
	v_add_f64 v[62:63], v[56:57], v[62:63]
	v_fma_f64 v[32:33], v[60:61], s[18:19], v[18:19]
	v_fma_f64 v[18:19], v[60:61], s[20:21], v[18:19]
	v_add_f64 v[60:61], v[72:73], -v[78:79]
	v_fma_f64 v[32:33], v[58:59], s[22:23], v[32:33]
	v_fma_f64 v[18:19], v[58:59], s[12:13], v[18:19]
	;; [unrolled: 1-line block ×3, first 2 shown]
	v_add_f64 v[32:33], v[12:13], v[82:83]
	v_fma_f64 v[18:19], v[62:63], s[2:3], v[18:19]
	v_add_f64 v[32:33], v[32:33], v[86:87]
	v_add_f64 v[32:33], v[32:33], v[68:69]
	;; [unrolled: 1-line block ×4, first 2 shown]
	v_fma_f64 v[32:33], v[32:33], -0.5, v[12:13]
	v_fma_f64 v[62:63], v[60:61], s[18:19], v[32:33]
	v_fma_f64 v[32:33], v[60:61], s[20:21], v[32:33]
	;; [unrolled: 1-line block ×6, first 2 shown]
	v_add_f64 v[32:33], v[82:83], v[64:65]
	v_add_f64 v[70:71], v[86:87], -v[82:83]
	v_add_f64 v[82:83], v[82:83], -v[64:65]
	v_add_f64 v[86:87], v[86:87], -v[68:69]
	v_add_f64 v[68:69], v[72:73], -v[74:75]
	v_fma_f64 v[12:13], v[32:33], -0.5, v[12:13]
	v_add_f64 v[124:125], v[70:71], v[124:125]
	v_fma_f64 v[32:33], v[90:91], s[20:21], v[12:13]
	v_fma_f64 v[12:13], v[90:91], s[18:19], v[12:13]
	v_add_f64 v[90:91], v[78:79], -v[76:77]
	v_fma_f64 v[32:33], v[60:61], s[12:13], v[32:33]
	v_fma_f64 v[12:13], v[60:61], s[22:23], v[12:13]
	v_add_f64 v[90:91], v[68:69], v[90:91]
	v_fma_f64 v[70:71], v[124:125], s[2:3], v[32:33]
	v_add_f64 v[32:33], v[14:15], v[72:73]
	v_fma_f64 v[12:13], v[124:125], s[2:3], v[12:13]
	v_add_f64 v[124:125], v[106:107], -v[114:115]
	v_add_f64 v[32:33], v[32:33], v[74:75]
	v_add_f64 v[32:33], v[32:33], v[76:77]
	;; [unrolled: 1-line block ×4, first 2 shown]
	v_fma_f64 v[32:33], v[32:33], -0.5, v[14:15]
	v_fma_f64 v[64:65], v[82:83], s[20:21], v[32:33]
	v_fma_f64 v[32:33], v[82:83], s[18:19], v[32:33]
	;; [unrolled: 1-line block ×6, first 2 shown]
	v_add_f64 v[32:33], v[72:73], v[78:79]
	v_add_f64 v[72:73], v[74:75], -v[72:73]
	v_add_f64 v[74:75], v[76:77], -v[78:79]
	;; [unrolled: 1-line block ×4, first 2 shown]
	v_fma_f64 v[14:15], v[32:33], -0.5, v[14:15]
	v_add_f64 v[74:75], v[72:73], v[74:75]
	v_fma_f64 v[32:33], v[86:87], s[18:19], v[14:15]
	v_fma_f64 v[14:15], v[86:87], s[20:21], v[14:15]
	v_add_f64 v[86:87], v[92:93], -v[94:95]
	v_fma_f64 v[32:33], v[82:83], s[22:23], v[32:33]
	v_fma_f64 v[14:15], v[82:83], s[12:13], v[14:15]
	v_add_f64 v[82:83], v[80:81], -v[84:85]
	v_fma_f64 v[72:73], v[74:75], s[2:3], v[32:33]
	v_add_f64 v[32:33], v[8:9], v[80:81]
	v_fma_f64 v[14:15], v[74:75], s[2:3], v[14:15]
	v_add_f64 v[90:91], v[82:83], v[90:91]
	v_add_f64 v[32:33], v[32:33], v[84:85]
	;; [unrolled: 1-line block ×5, first 2 shown]
	v_add_f64 v[106:107], v[84:85], -v[106:107]
	v_fma_f64 v[32:33], v[32:33], -0.5, v[8:9]
	v_fma_f64 v[78:79], v[76:77], s[18:19], v[32:33]
	v_fma_f64 v[32:33], v[76:77], s[20:21], v[32:33]
	;; [unrolled: 1-line block ×6, first 2 shown]
	v_add_f64 v[32:33], v[80:81], v[114:115]
	v_add_f64 v[90:91], v[84:85], -v[80:81]
	v_add_f64 v[84:85], v[88:89], -v[92:93]
	v_fma_f64 v[8:9], v[32:33], -0.5, v[8:9]
	v_add_f64 v[124:125], v[90:91], v[124:125]
	v_fma_f64 v[32:33], v[86:87], s[20:21], v[8:9]
	v_fma_f64 v[8:9], v[86:87], s[18:19], v[8:9]
	;; [unrolled: 1-line block ×6, first 2 shown]
	v_add_f64 v[8:9], v[10:11], v[88:89]
	v_add_f64 v[32:33], v[80:81], -v[114:115]
	v_add_f64 v[114:115], v[96:97], -v[94:95]
	;; [unrolled: 1-line block ×3, first 2 shown]
	v_add_f64 v[8:9], v[8:9], v[92:93]
	v_add_f64 v[114:115], v[84:85], v[114:115]
	;; [unrolled: 1-line block ×5, first 2 shown]
	v_fma_f64 v[8:9], v[8:9], -0.5, v[10:11]
	v_fma_f64 v[80:81], v[32:33], s[20:21], v[8:9]
	v_fma_f64 v[8:9], v[32:33], s[18:19], v[8:9]
	v_fma_f64 v[80:81], v[106:107], s[22:23], v[80:81]
	v_fma_f64 v[8:9], v[106:107], s[12:13], v[8:9]
	v_fma_f64 v[84:85], v[114:115], s[2:3], v[80:81]
	v_fma_f64 v[80:81], v[114:115], s[2:3], v[8:9]
	v_add_f64 v[8:9], v[88:89], v[96:97]
	v_add_f64 v[88:89], v[92:93], -v[88:89]
	v_add_f64 v[92:93], v[94:95], -v[96:97]
	;; [unrolled: 1-line block ×4, first 2 shown]
	v_fma_f64 v[8:9], v[8:9], -0.5, v[10:11]
	v_add_f64 v[88:89], v[88:89], v[92:93]
	v_fma_f64 v[10:11], v[106:107], s[18:19], v[8:9]
	v_fma_f64 v[8:9], v[106:107], s[20:21], v[8:9]
	v_add_f64 v[106:107], v[116:117], -v[118:119]
	v_fma_f64 v[10:11], v[32:33], s[22:23], v[10:11]
	v_fma_f64 v[8:9], v[32:33], s[12:13], v[8:9]
	v_add_f64 v[106:107], v[106:107], v[114:115]
	v_fma_f64 v[92:93], v[88:89], s[2:3], v[10:11]
	v_fma_f64 v[88:89], v[88:89], s[2:3], v[8:9]
	v_add_f64 v[8:9], v[4:5], v[116:117]
	v_add_f64 v[10:11], v[98:99], -v[104:105]
	v_add_f64 v[8:9], v[8:9], v[118:119]
	v_add_f64 v[8:9], v[8:9], v[120:121]
	v_add_f64 v[94:95], v[8:9], v[122:123]
	v_add_f64 v[8:9], v[118:119], v[120:121]
	v_fma_f64 v[8:9], v[8:9], -0.5, v[4:5]
	v_fma_f64 v[32:33], v[10:11], s[18:19], v[8:9]
	v_fma_f64 v[8:9], v[10:11], s[20:21], v[8:9]
	;; [unrolled: 1-line block ×5, first 2 shown]
	v_add_f64 v[32:33], v[116:117], v[122:123]
	v_fma_f64 v[8:9], v[106:107], s[2:3], v[8:9]
	v_add_f64 v[106:107], v[118:119], -v[116:117]
	v_add_f64 v[118:119], v[118:119], -v[120:121]
	;; [unrolled: 1-line block ×3, first 2 shown]
	v_fma_f64 v[32:33], v[32:33], -0.5, v[4:5]
	v_add_f64 v[106:107], v[106:107], v[124:125]
	v_fma_f64 v[4:5], v[96:97], s[20:21], v[32:33]
	v_fma_f64 v[32:33], v[96:97], s[18:19], v[32:33]
	;; [unrolled: 1-line block ×4, first 2 shown]
	v_add_f64 v[32:33], v[116:117], -v[122:123]
	v_add_f64 v[116:117], v[98:99], -v[100:101]
	v_fma_f64 v[4:5], v[106:107], s[2:3], v[4:5]
	v_fma_f64 v[124:125], v[106:107], s[2:3], v[10:11]
	v_add_f64 v[10:11], v[6:7], v[98:99]
	v_add_f64 v[120:121], v[116:117], v[120:121]
	;; [unrolled: 1-line block ×6, first 2 shown]
	v_fma_f64 v[10:11], v[10:11], -0.5, v[6:7]
	v_fma_f64 v[106:107], v[32:33], s[20:21], v[10:11]
	v_fma_f64 v[10:11], v[32:33], s[18:19], v[10:11]
	;; [unrolled: 1-line block ×5, first 2 shown]
	v_add_f64 v[106:107], v[98:99], v[104:105]
	v_add_f64 v[98:99], v[100:101], -v[98:99]
	v_add_f64 v[100:101], v[102:103], -v[104:105]
	v_fma_f64 v[10:11], v[120:121], s[2:3], v[10:11]
	v_fma_f64 v[106:107], v[106:107], -0.5, v[6:7]
	v_add_f64 v[98:99], v[98:99], v[100:101]
	v_fma_f64 v[6:7], v[118:119], s[18:19], v[106:107]
	v_fma_f64 v[100:101], v[118:119], s[20:21], v[106:107]
	;; [unrolled: 1-line block ×6, first 2 shown]
	v_mul_u32_u24_e32 v32, 0x41, v156
	v_add_u32_sdwa v32, v32, v157 dst_sel:DWORD dst_unused:UNUSED_PAD src0_sel:DWORD src1_sel:BYTE_0
	v_lshl_add_u32 v203, v32, 4, v177
	ds_write_b128 v203, v[20:23]
	ds_write_b128 v203, v[28:31] offset:208
	ds_write_b128 v203, v[38:41] offset:416
	ds_write_b128 v203, v[34:37] offset:624
	ds_write_b128 v203, v[24:27] offset:832
	v_mul_u32_u24_e32 v20, 0x41, v158
	v_add_u32_sdwa v20, v20, v159 dst_sel:DWORD dst_unused:UNUSED_PAD src0_sel:DWORD src1_sel:BYTE_0
	v_lshl_add_u32 v231, v20, 4, v177
	ds_write_b128 v231, v[42:45]
	ds_write_b128 v231, v[50:53] offset:208
	ds_write_b128 v231, v[54:57] offset:416
	ds_write_b128 v231, v[16:19] offset:624
	ds_write_b128 v231, v[46:49] offset:832
	;; [unrolled: 8-line block ×3, first 2 shown]
	v_mul_u32_u24_e32 v12, 0x41, v164
	v_add_u32_sdwa v12, v12, v165 dst_sel:DWORD dst_unused:UNUSED_PAD src0_sel:DWORD src1_sel:BYTE_0
	v_lshl_add_u32 v235, v12, 4, v177
	v_mul_u32_u24_e32 v12, 0x41, v168
	v_add_u32_sdwa v12, v12, v169 dst_sel:DWORD dst_unused:UNUSED_PAD src0_sel:DWORD src1_sel:BYTE_0
	v_lshl_add_u32 v12, v12, 4, v177
	ds_write_b128 v235, v[74:77]
	ds_write_b128 v235, v[82:85] offset:208
	ds_write_b128 v235, v[90:93] offset:416
	;; [unrolled: 1-line block ×4, first 2 shown]
	ds_write_b128 v12, v[94:97]
	ds_write_b128 v12, v[114:117] offset:208
	ds_write_b128 v12, v[4:7] offset:416
	ds_write_b128 v12, v[124:127] offset:624
	buffer_store_dword v12, off, s[56:59], 0 offset:432 ; 4-byte Folded Spill
	ds_write_b128 v12, v[8:11] offset:832
	s_waitcnt vmcnt(0) lgkmcnt(0)
	s_barrier
	ds_read_b128 v[36:39], v176
	ds_read_b128 v[104:107], v176 offset:5200
	ds_read_b128 v[100:103], v176 offset:10400
	;; [unrolled: 1-line block ×23, first 2 shown]
	v_cmp_gt_u16_e64 s[2:3], 13, v232
                                        ; implicit-def: $vgpr40_vgpr41
	s_and_saveexec_b64 s[12:13], s[2:3]
	s_cbranch_execz .LBB0_9
; %bb.8:
	ds_read_b128 v[8:11], v176 offset:4992
	ds_read_b128 v[0:3], v176 offset:10192
	;; [unrolled: 1-line block ×3, first 2 shown]
.LBB0_9:
	s_or_b64 exec, exec, s[12:13]
	v_lshlrev_b64 v[114:115], 5, v[232:233]
	v_add_co_u32_e32 v150, vcc, 0xea, v232
	v_add_co_u32_e32 v114, vcc, s4, v114
	v_mov_b32_e32 v153, s5
	v_addc_co_u32_e32 v115, vcc, v153, v115, vcc
	global_load_dwordx4 v[118:121], v[114:115], off offset:848
	global_load_dwordx4 v[122:125], v[114:115], off offset:832
	s_movk_i32 s12, 0xffe6
	v_add_u32_e32 v151, 0x111, v232
	v_add_u32_e32 v152, 0x138, v232
	s_mov_b32 s19, 0xbfebb67a
	s_movk_i32 s16, 0xc3
	s_waitcnt vmcnt(0) lgkmcnt(14)
	v_mul_f64 v[116:117], v[106:107], v[124:125]
	v_fma_f64 v[138:139], v[104:105], v[122:123], -v[116:117]
	v_mul_f64 v[104:105], v[104:105], v[124:125]
	buffer_store_dword v122, off, s[56:59], 0 offset:452 ; 4-byte Folded Spill
	s_nop 0
	buffer_store_dword v123, off, s[56:59], 0 offset:456 ; 4-byte Folded Spill
	buffer_store_dword v124, off, s[56:59], 0 offset:460 ; 4-byte Folded Spill
	;; [unrolled: 1-line block ×3, first 2 shown]
	v_fma_f64 v[140:141], v[106:107], v[122:123], v[104:105]
	v_mul_f64 v[104:105], v[102:103], v[120:121]
	v_fma_f64 v[142:143], v[100:101], v[118:119], -v[104:105]
	v_mul_f64 v[100:101], v[100:101], v[120:121]
	buffer_store_dword v118, off, s[56:59], 0 offset:436 ; 4-byte Folded Spill
	s_nop 0
	buffer_store_dword v119, off, s[56:59], 0 offset:440 ; 4-byte Folded Spill
	buffer_store_dword v120, off, s[56:59], 0 offset:444 ; 4-byte Folded Spill
	;; [unrolled: 1-line block ×3, first 2 shown]
	v_fma_f64 v[144:145], v[102:103], v[118:119], v[100:101]
	v_add_co_u32_e32 v100, vcc, s12, v232
	v_addc_co_u32_e64 v101, s[12:13], 0, -1, vcc
	v_cmp_gt_u16_e32 vcc, 26, v232
	v_cndmask_b32_e32 v101, v101, v163, vcc
	v_cndmask_b32_e32 v100, v100, v162, vcc
	v_lshlrev_b64 v[101:102], 5, v[100:101]
	s_movk_i32 s12, 0xfd
	v_add_co_u32_e32 v101, vcc, s4, v101
	v_addc_co_u32_e32 v102, vcc, v153, v102, vcc
	global_load_dwordx4 v[103:106], v[101:102], off offset:848
	global_load_dwordx4 v[116:119], v[101:102], off offset:832
	s_waitcnt vmcnt(0)
	v_mul_f64 v[101:102], v[98:99], v[118:119]
	v_fma_f64 v[128:129], v[96:97], v[116:117], -v[101:102]
	v_mul_f64 v[96:97], v[96:97], v[118:119]
	buffer_store_dword v116, off, s[56:59], 0 offset:500 ; 4-byte Folded Spill
	s_nop 0
	buffer_store_dword v117, off, s[56:59], 0 offset:504 ; 4-byte Folded Spill
	buffer_store_dword v118, off, s[56:59], 0 offset:508 ; 4-byte Folded Spill
	;; [unrolled: 1-line block ×3, first 2 shown]
	v_fma_f64 v[130:131], v[98:99], v[116:117], v[96:97]
	v_mul_f64 v[96:97], v[94:95], v[105:106]
	v_fma_f64 v[132:133], v[92:93], v[103:104], -v[96:97]
	v_mul_f64 v[92:93], v[92:93], v[105:106]
	buffer_store_dword v103, off, s[56:59], 0 offset:468 ; 4-byte Folded Spill
	s_nop 0
	buffer_store_dword v104, off, s[56:59], 0 offset:472 ; 4-byte Folded Spill
	buffer_store_dword v105, off, s[56:59], 0 offset:476 ; 4-byte Folded Spill
	buffer_store_dword v106, off, s[56:59], 0 offset:480 ; 4-byte Folded Spill
	v_fma_f64 v[134:135], v[94:95], v[103:104], v[92:93]
	global_load_dwordx4 v[94:97], v[114:115], off offset:1264
	global_load_dwordx4 v[101:104], v[114:115], off offset:1248
	s_waitcnt vmcnt(0)
	v_mul_f64 v[92:93], v[90:91], v[103:104]
	v_fma_f64 v[120:121], v[88:89], v[101:102], -v[92:93]
	v_mul_f64 v[88:89], v[88:89], v[103:104]
	buffer_store_dword v101, off, s[56:59], 0 offset:516 ; 4-byte Folded Spill
	s_nop 0
	buffer_store_dword v102, off, s[56:59], 0 offset:520 ; 4-byte Folded Spill
	buffer_store_dword v103, off, s[56:59], 0 offset:524 ; 4-byte Folded Spill
	;; [unrolled: 1-line block ×3, first 2 shown]
	v_fma_f64 v[122:123], v[90:91], v[101:102], v[88:89]
	v_mul_f64 v[88:89], v[86:87], v[96:97]
	v_fma_f64 v[124:125], v[84:85], v[94:95], -v[88:89]
	v_mul_f64 v[84:85], v[84:85], v[96:97]
	buffer_store_dword v94, off, s[56:59], 0 offset:484 ; 4-byte Folded Spill
	s_nop 0
	buffer_store_dword v95, off, s[56:59], 0 offset:488 ; 4-byte Folded Spill
	buffer_store_dword v96, off, s[56:59], 0 offset:492 ; 4-byte Folded Spill
	;; [unrolled: 1-line block ×3, first 2 shown]
	v_fma_f64 v[126:127], v[86:87], v[94:95], v[84:85]
	v_mul_lo_u16_sdwa v84, v110, s12 dst_sel:DWORD dst_unused:UNUSED_PAD src0_sel:BYTE_0 src1_sel:DWORD
	v_lshrrev_b16_e32 v107, 14, v84
	v_mul_lo_u16_e32 v84, 0x41, v107
	v_sub_u16_e32 v146, v110, v84
	v_mov_b32_e32 v84, 5
	v_lshlrev_b32_sdwa v84, v84, v146 dst_sel:DWORD dst_unused:UNUSED_PAD src0_sel:DWORD src1_sel:BYTE_0
	global_load_dwordx4 v[86:89], v84, s[4:5] offset:848
	global_load_dwordx4 v[90:93], v84, s[4:5] offset:832
	s_waitcnt vmcnt(0) lgkmcnt(13)
	v_mul_f64 v[84:85], v[82:83], v[92:93]
	v_fma_f64 v[105:106], v[80:81], v[90:91], -v[84:85]
	v_mul_f64 v[80:81], v[80:81], v[92:93]
	buffer_store_dword v90, off, s[56:59], 0 offset:548 ; 4-byte Folded Spill
	s_nop 0
	buffer_store_dword v91, off, s[56:59], 0 offset:552 ; 4-byte Folded Spill
	buffer_store_dword v92, off, s[56:59], 0 offset:556 ; 4-byte Folded Spill
	;; [unrolled: 1-line block ×3, first 2 shown]
	v_fma_f64 v[114:115], v[82:83], v[90:91], v[80:81]
	s_waitcnt lgkmcnt(12)
	v_mul_f64 v[80:81], v[78:79], v[88:89]
	v_fma_f64 v[116:117], v[76:77], v[86:87], -v[80:81]
	v_mul_f64 v[76:77], v[76:77], v[88:89]
	buffer_store_dword v86, off, s[56:59], 0 offset:532 ; 4-byte Folded Spill
	s_nop 0
	buffer_store_dword v87, off, s[56:59], 0 offset:536 ; 4-byte Folded Spill
	buffer_store_dword v88, off, s[56:59], 0 offset:540 ; 4-byte Folded Spill
	;; [unrolled: 1-line block ×3, first 2 shown]
	v_fma_f64 v[118:119], v[78:79], v[86:87], v[76:77]
	v_mul_lo_u16_sdwa v76, v108, s12 dst_sel:DWORD dst_unused:UNUSED_PAD src0_sel:BYTE_0 src1_sel:DWORD
	v_lshrrev_b16_e32 v76, 14, v76
	v_mul_lo_u16_e32 v76, 0x41, v76
	v_sub_u16_e32 v76, v108, v76
	v_and_b32_e32 v147, 0xff, v76
	v_lshlrev_b32_e32 v76, 5, v147
	global_load_dwordx4 v[78:81], v76, s[4:5] offset:848
	global_load_dwordx4 v[82:85], v76, s[4:5] offset:832
	s_waitcnt vmcnt(0) lgkmcnt(10)
	v_mul_f64 v[76:77], v[74:75], v[84:85]
	v_fma_f64 v[96:97], v[72:73], v[82:83], -v[76:77]
	v_mul_f64 v[72:73], v[72:73], v[84:85]
	buffer_store_dword v82, off, s[56:59], 0 offset:580 ; 4-byte Folded Spill
	s_nop 0
	buffer_store_dword v83, off, s[56:59], 0 offset:584 ; 4-byte Folded Spill
	buffer_store_dword v84, off, s[56:59], 0 offset:588 ; 4-byte Folded Spill
	;; [unrolled: 1-line block ×3, first 2 shown]
	v_fma_f64 v[98:99], v[74:75], v[82:83], v[72:73]
	s_waitcnt lgkmcnt(9)
	v_mul_f64 v[72:73], v[70:71], v[80:81]
	v_fma_f64 v[101:102], v[68:69], v[78:79], -v[72:73]
	v_mul_f64 v[68:69], v[68:69], v[80:81]
	buffer_store_dword v78, off, s[56:59], 0 offset:564 ; 4-byte Folded Spill
	s_nop 0
	buffer_store_dword v79, off, s[56:59], 0 offset:568 ; 4-byte Folded Spill
	buffer_store_dword v80, off, s[56:59], 0 offset:572 ; 4-byte Folded Spill
	;; [unrolled: 1-line block ×3, first 2 shown]
	v_fma_f64 v[103:104], v[70:71], v[78:79], v[68:69]
	v_add_u16_e32 v68, 0xc3, v232
	v_mul_lo_u16_sdwa v69, v68, s12 dst_sel:DWORD dst_unused:UNUSED_PAD src0_sel:BYTE_0 src1_sel:DWORD
	v_lshrrev_b16_e32 v69, 14, v69
	v_mul_lo_u16_e32 v69, 0x41, v69
	v_sub_u16_e32 v68, v68, v69
	v_and_b32_e32 v148, 0xff, v68
	v_lshlrev_b32_e32 v68, 5, v148
	global_load_dwordx4 v[70:73], v68, s[4:5] offset:848
	global_load_dwordx4 v[74:77], v68, s[4:5] offset:832
	s_movk_i32 s12, 0xfc1
	s_waitcnt vmcnt(0) lgkmcnt(7)
	v_mul_f64 v[68:69], v[66:67], v[76:77]
	v_fma_f64 v[88:89], v[64:65], v[74:75], -v[68:69]
	v_mul_f64 v[64:65], v[64:65], v[76:77]
	buffer_store_dword v74, off, s[56:59], 0 offset:612 ; 4-byte Folded Spill
	s_nop 0
	buffer_store_dword v75, off, s[56:59], 0 offset:616 ; 4-byte Folded Spill
	buffer_store_dword v76, off, s[56:59], 0 offset:620 ; 4-byte Folded Spill
	buffer_store_dword v77, off, s[56:59], 0 offset:624 ; 4-byte Folded Spill
	v_fma_f64 v[90:91], v[66:67], v[74:75], v[64:65]
	s_waitcnt lgkmcnt(6)
	v_mul_f64 v[64:65], v[62:63], v[72:73]
	v_fma_f64 v[92:93], v[60:61], v[70:71], -v[64:65]
	v_mul_f64 v[60:61], v[60:61], v[72:73]
	buffer_store_dword v70, off, s[56:59], 0 offset:596 ; 4-byte Folded Spill
	s_nop 0
	buffer_store_dword v71, off, s[56:59], 0 offset:600 ; 4-byte Folded Spill
	buffer_store_dword v72, off, s[56:59], 0 offset:604 ; 4-byte Folded Spill
	buffer_store_dword v73, off, s[56:59], 0 offset:608 ; 4-byte Folded Spill
	v_fma_f64 v[94:95], v[62:63], v[70:71], v[60:61]
	v_mul_u32_u24_sdwa v60, v150, s12 dst_sel:DWORD dst_unused:UNUSED_PAD src0_sel:WORD_0 src1_sel:DWORD
	v_lshrrev_b32_e32 v149, 18, v60
	v_mul_lo_u16_e32 v60, 0x41, v149
	v_sub_u16_e32 v150, v150, v60
	v_lshlrev_b16_e32 v60, 5, v150
	v_add_co_u32_e32 v60, vcc, s4, v60
	v_addc_co_u32_e32 v61, vcc, 0, v153, vcc
	global_load_dwordx4 v[62:65], v[60:61], off offset:848
	global_load_dwordx4 v[66:69], v[60:61], off offset:832
	s_waitcnt vmcnt(0) lgkmcnt(4)
	v_mul_f64 v[60:61], v[58:59], v[68:69]
	v_fma_f64 v[74:75], v[56:57], v[66:67], -v[60:61]
	v_mul_f64 v[56:57], v[56:57], v[68:69]
	buffer_store_dword v66, off, s[56:59], 0 offset:644 ; 4-byte Folded Spill
	s_nop 0
	buffer_store_dword v67, off, s[56:59], 0 offset:648 ; 4-byte Folded Spill
	buffer_store_dword v68, off, s[56:59], 0 offset:652 ; 4-byte Folded Spill
	buffer_store_dword v69, off, s[56:59], 0 offset:656 ; 4-byte Folded Spill
	v_fma_f64 v[84:85], v[58:59], v[66:67], v[56:57]
	s_waitcnt lgkmcnt(3)
	v_mul_f64 v[56:57], v[54:55], v[64:65]
	v_fma_f64 v[80:81], v[52:53], v[62:63], -v[56:57]
	v_mul_f64 v[52:53], v[52:53], v[64:65]
	buffer_store_dword v62, off, s[56:59], 0 offset:628 ; 4-byte Folded Spill
	s_nop 0
	buffer_store_dword v63, off, s[56:59], 0 offset:632 ; 4-byte Folded Spill
	buffer_store_dword v64, off, s[56:59], 0 offset:636 ; 4-byte Folded Spill
	buffer_store_dword v65, off, s[56:59], 0 offset:640 ; 4-byte Folded Spill
	v_fma_f64 v[86:87], v[54:55], v[62:63], v[52:53]
	v_mul_u32_u24_sdwa v52, v151, s12 dst_sel:DWORD dst_unused:UNUSED_PAD src0_sel:WORD_0 src1_sel:DWORD
	v_lshrrev_b32_e32 v52, 18, v52
	v_mul_lo_u16_e32 v52, 0x41, v52
	v_sub_u16_e32 v151, v151, v52
	v_lshlrev_b16_e32 v52, 5, v151
	v_add_co_u32_e32 v52, vcc, s4, v52
	v_addc_co_u32_e32 v53, vcc, 0, v153, vcc
	global_load_dwordx4 v[54:57], v[52:53], off offset:848
	global_load_dwordx4 v[58:61], v[52:53], off offset:832
	;; [unrolled: 29-line block ×3, first 2 shown]
	s_mov_b32 s12, 0xe8584caa
	s_mov_b32 s13, 0x3febb67a
	;; [unrolled: 1-line block ×3, first 2 shown]
	v_cmp_lt_u16_e32 vcc, 25, v232
	v_lshl_add_u32 v233, v152, 4, v177
	s_waitcnt vmcnt(0)
	v_mul_f64 v[44:45], v[2:3], v[52:53]
	v_fma_f64 v[64:65], v[0:1], v[50:51], -v[44:45]
	v_mul_f64 v[0:1], v[0:1], v[52:53]
	buffer_store_dword v50, off, s[56:59], 0 offset:972 ; 4-byte Folded Spill
	s_nop 0
	buffer_store_dword v51, off, s[56:59], 0 offset:976 ; 4-byte Folded Spill
	buffer_store_dword v52, off, s[56:59], 0 offset:980 ; 4-byte Folded Spill
	buffer_store_dword v53, off, s[56:59], 0 offset:984 ; 4-byte Folded Spill
	v_add_f64 v[44:45], v[138:139], -v[142:143]
	v_fma_f64 v[70:71], v[2:3], v[50:51], v[0:1]
	v_mul_f64 v[0:1], v[42:43], v[48:49]
	v_add_f64 v[2:3], v[138:139], v[142:143]
	v_fma_f64 v[66:67], v[40:41], v[46:47], -v[0:1]
	v_mul_f64 v[0:1], v[40:41], v[48:49]
	buffer_store_dword v46, off, s[56:59], 0 offset:956 ; 4-byte Folded Spill
	s_nop 0
	buffer_store_dword v47, off, s[56:59], 0 offset:960 ; 4-byte Folded Spill
	buffer_store_dword v48, off, s[56:59], 0 offset:964 ; 4-byte Folded Spill
	;; [unrolled: 1-line block ×3, first 2 shown]
	v_fma_f64 v[2:3], v[2:3], -0.5, v[36:37]
	v_fma_f64 v[68:69], v[42:43], v[46:47], v[0:1]
	v_add_f64 v[0:1], v[36:37], v[138:139]
	v_add_f64 v[36:37], v[140:141], -v[144:145]
	v_add_f64 v[42:43], v[140:141], v[144:145]
	v_add_f64 v[46:47], v[128:129], v[132:133]
	;; [unrolled: 1-line block ×3, first 2 shown]
	v_fma_f64 v[40:41], v[36:37], s[12:13], v[2:3]
	v_fma_f64 v[36:37], v[36:37], s[18:19], v[2:3]
	v_add_f64 v[2:3], v[38:39], v[140:141]
	v_fma_f64 v[38:39], v[42:43], -0.5, v[38:39]
	v_add_f64 v[2:3], v[2:3], v[144:145]
	v_fma_f64 v[42:43], v[44:45], s[18:19], v[38:39]
	v_fma_f64 v[38:39], v[44:45], s[12:13], v[38:39]
	v_add_f64 v[44:45], v[32:33], v[128:129]
	v_fma_f64 v[32:33], v[46:47], -0.5, v[32:33]
	v_add_f64 v[46:47], v[130:131], -v[134:135]
	v_add_f64 v[44:45], v[44:45], v[132:133]
	v_fma_f64 v[52:53], v[46:47], s[12:13], v[32:33]
	v_fma_f64 v[48:49], v[46:47], s[18:19], v[32:33]
	v_add_f64 v[32:33], v[34:35], v[130:131]
	v_add_f64 v[46:47], v[32:33], v[134:135]
	;; [unrolled: 1-line block ×3, first 2 shown]
	v_fma_f64 v[32:33], v[32:33], -0.5, v[34:35]
	v_add_f64 v[34:35], v[128:129], -v[132:133]
	v_fma_f64 v[54:55], v[34:35], s[18:19], v[32:33]
	v_fma_f64 v[50:51], v[34:35], s[12:13], v[32:33]
	v_add_f64 v[32:33], v[28:29], v[120:121]
	v_add_f64 v[34:35], v[114:115], -v[118:119]
	v_add_f64 v[56:57], v[32:33], v[124:125]
	v_add_f64 v[32:33], v[120:121], v[124:125]
	v_fma_f64 v[28:29], v[32:33], -0.5, v[28:29]
	v_add_f64 v[32:33], v[122:123], -v[126:127]
	v_fma_f64 v[60:61], v[32:33], s[12:13], v[28:29]
	v_fma_f64 v[28:29], v[32:33], s[18:19], v[28:29]
	v_add_f64 v[32:33], v[30:31], v[122:123]
	v_add_f64 v[58:59], v[32:33], v[126:127]
	;; [unrolled: 1-line block ×3, first 2 shown]
	v_fma_f64 v[30:31], v[32:33], -0.5, v[30:31]
	v_add_f64 v[32:33], v[120:121], -v[124:125]
	v_fma_f64 v[62:63], v[32:33], s[18:19], v[30:31]
	v_fma_f64 v[30:31], v[32:33], s[12:13], v[30:31]
	v_add_f64 v[32:33], v[24:25], v[105:106]
	v_add_f64 v[120:121], v[32:33], v[116:117]
	;; [unrolled: 1-line block ×3, first 2 shown]
	v_fma_f64 v[32:33], v[32:33], -0.5, v[24:25]
	v_fma_f64 v[24:25], v[34:35], s[12:13], v[32:33]
	v_fma_f64 v[124:125], v[34:35], s[18:19], v[32:33]
	v_add_f64 v[32:33], v[26:27], v[114:115]
	v_add_f64 v[34:35], v[105:106], -v[116:117]
	v_add_f64 v[122:123], v[32:33], v[118:119]
	v_add_f64 v[32:33], v[114:115], v[118:119]
	v_fma_f64 v[32:33], v[32:33], -0.5, v[26:27]
	v_fma_f64 v[26:27], v[34:35], s[18:19], v[32:33]
	v_fma_f64 v[126:127], v[34:35], s[12:13], v[32:33]
	v_add_f64 v[32:33], v[20:21], v[96:97]
	v_add_f64 v[34:35], v[98:99], -v[103:104]
	v_add_f64 v[114:115], v[32:33], v[101:102]
	v_add_f64 v[32:33], v[96:97], v[101:102]
	;; [unrolled: 7-line block ×8, first 2 shown]
	v_fma_f64 v[32:33], v[32:33], -0.5, v[4:5]
	v_fma_f64 v[4:5], v[34:35], s[12:13], v[32:33]
	v_fma_f64 v[74:75], v[34:35], s[18:19], v[32:33]
	v_add_f64 v[32:33], v[6:7], v[76:77]
	v_add_f64 v[34:35], v[72:73], -v[78:79]
	v_add_f64 v[72:73], v[70:71], -v[68:69]
	;; [unrolled: 1-line block ×3, first 2 shown]
	v_add_f64 v[86:87], v[32:33], v[82:83]
	v_add_f64 v[32:33], v[76:77], v[82:83]
	v_fma_f64 v[32:33], v[32:33], -0.5, v[6:7]
	v_fma_f64 v[6:7], v[34:35], s[18:19], v[32:33]
	v_fma_f64 v[76:77], v[34:35], s[12:13], v[32:33]
	v_add_f64 v[32:33], v[64:65], v[66:67]
	v_fma_f64 v[34:35], v[32:33], -0.5, v[8:9]
	v_fma_f64 v[32:33], v[72:73], s[12:13], v[34:35]
	v_fma_f64 v[80:81], v[72:73], s[18:19], v[34:35]
	v_add_f64 v[34:35], v[70:71], v[68:69]
	v_fma_f64 v[72:73], v[34:35], -0.5, v[10:11]
	v_fma_f64 v[82:83], v[78:79], s[12:13], v[72:73]
	buffer_store_dword v80, off, s[56:59], 0 ; 4-byte Folded Spill
	s_nop 0
	buffer_store_dword v81, off, s[56:59], 0 offset:4 ; 4-byte Folded Spill
	buffer_store_dword v82, off, s[56:59], 0 offset:8 ; 4-byte Folded Spill
	;; [unrolled: 1-line block ×3, first 2 shown]
	s_waitcnt vmcnt(0)
	s_barrier
	ds_write_b128 v176, v[0:3]
	ds_write_b128 v176, v[40:43] offset:1040
	ds_write_b128 v176, v[36:39] offset:2080
	v_mov_b32_e32 v0, 0xc3
	v_cndmask_b32_e32 v0, 0, v0, vcc
	v_add_u32_e32 v0, v100, v0
	v_lshl_add_u32 v0, v0, 4, v177
	v_fma_f64 v[34:35], v[78:79], s[18:19], v[72:73]
	ds_write_b128 v0, v[44:47]
	ds_write_b128 v0, v[52:55] offset:1040
	buffer_store_dword v0, off, s[56:59], 0 offset:692 ; 4-byte Folded Spill
	ds_write_b128 v0, v[48:51] offset:2080
	ds_write_b128 v176, v[56:59] offset:3328
	;; [unrolled: 1-line block ×4, first 2 shown]
	v_mul_u32_u24_e32 v0, 0xc3, v107
	v_add_u32_sdwa v0, v0, v146 dst_sel:DWORD dst_unused:UNUSED_PAD src0_sel:DWORD src1_sel:BYTE_0
	v_lshl_add_u32 v0, v0, 4, v177
	ds_write_b128 v0, v[120:123]
	ds_write_b128 v0, v[24:27] offset:1040
	buffer_store_dword v0, off, s[56:59], 0 offset:696 ; 4-byte Folded Spill
	ds_write_b128 v0, v[124:127] offset:2080
	v_lshl_add_u32 v0, v147, 4, v177
	ds_write_b128 v0, v[114:117] offset:6240
	ds_write_b128 v0, v[20:23] offset:7280
	buffer_store_dword v0, off, s[56:59], 0 offset:700 ; 4-byte Folded Spill
	ds_write_b128 v0, v[128:131] offset:8320
	v_lshl_add_u32 v0, v148, 4, v177
	ds_write_b128 v0, v[96:99] offset:9360
	ds_write_b128 v0, v[16:19] offset:10400
	buffer_store_dword v0, off, s[56:59], 0 offset:704 ; 4-byte Folded Spill
	ds_write_b128 v0, v[101:104] offset:11440
	v_mad_legacy_u16 v0, v149, s16, v150
	v_lshl_add_u32 v0, v0, 4, v177
	ds_write_b128 v0, v[88:91]
	ds_write_b128 v0, v[12:15] offset:1040
	buffer_store_dword v0, off, s[56:59], 0 offset:724 ; 4-byte Folded Spill
	ds_write_b128 v0, v[92:95] offset:2080
	v_lshl_add_u32 v0, v151, 4, v177
	ds_write_b128 v0, v[84:87] offset:12480
	ds_write_b128 v0, v[4:7] offset:13520
	buffer_store_dword v0, off, s[56:59], 0 offset:728 ; 4-byte Folded Spill
	ds_write_b128 v0, v[74:77] offset:14560
	s_and_saveexec_b64 s[12:13], s[2:3]
	s_cbranch_execz .LBB0_11
; %bb.10:
	v_add_f64 v[0:1], v[10:11], v[70:71]
	v_add_f64 v[4:5], v[8:9], v[64:65]
	;; [unrolled: 1-line block ×4, first 2 shown]
	ds_write_b128 v233, v[32:35] offset:13520
	ds_write_b128 v233, v[0:3] offset:12480
	buffer_load_dword v0, off, s[56:59], 0  ; 4-byte Folded Reload
	buffer_load_dword v1, off, s[56:59], 0 offset:4 ; 4-byte Folded Reload
	buffer_load_dword v2, off, s[56:59], 0 offset:8 ; 4-byte Folded Reload
	;; [unrolled: 1-line block ×3, first 2 shown]
	s_waitcnt vmcnt(0)
	ds_write_b128 v233, v[0:3] offset:14560
.LBB0_11:
	s_or_b64 exec, exec, s[12:13]
	v_mov_b32_e32 v0, s17
	v_lshlrev_b32_e32 v84, 6, v232
	v_addc_co_u32_e64 v168, vcc, 0, v0, s[6:7]
	s_waitcnt vmcnt(0) lgkmcnt(0)
	s_barrier
	ds_read_b128 v[44:47], v176
	ds_read_b128 v[0:3], v176 offset:3120
	ds_read_b128 v[4:7], v176 offset:6240
	;; [unrolled: 1-line block ×24, first 2 shown]
	global_load_dwordx4 v[118:121], v84, s[4:5] offset:2960
	global_load_dwordx4 v[100:103], v84, s[4:5] offset:2944
	;; [unrolled: 1-line block ×4, first 2 shown]
	s_mov_b32 s12, 0x134454ff
	s_mov_b32 s13, 0x3fee6f0e
	;; [unrolled: 1-line block ×8, first 2 shown]
	v_lshl_add_u32 v178, v167, 4, v166
	s_waitcnt vmcnt(0) lgkmcnt(14)
	v_mul_f64 v[84:85], v[2:3], v[90:91]
	v_fma_f64 v[86:87], v[0:1], v[88:89], -v[84:85]
	v_mul_f64 v[0:1], v[0:1], v[90:91]
	buffer_store_dword v88, off, s[56:59], 0 offset:764 ; 4-byte Folded Spill
	s_nop 0
	buffer_store_dword v89, off, s[56:59], 0 offset:768 ; 4-byte Folded Spill
	buffer_store_dword v90, off, s[56:59], 0 offset:772 ; 4-byte Folded Spill
	buffer_store_dword v91, off, s[56:59], 0 offset:776 ; 4-byte Folded Spill
	v_fma_f64 v[94:95], v[2:3], v[88:89], v[0:1]
	v_mul_f64 v[0:1], v[6:7], v[98:99]
	v_fma_f64 v[90:91], v[4:5], v[96:97], -v[0:1]
	v_mul_f64 v[0:1], v[4:5], v[98:99]
	buffer_store_dword v96, off, s[56:59], 0 offset:748 ; 4-byte Folded Spill
	s_nop 0
	buffer_store_dword v97, off, s[56:59], 0 offset:752 ; 4-byte Folded Spill
	buffer_store_dword v98, off, s[56:59], 0 offset:756 ; 4-byte Folded Spill
	buffer_store_dword v99, off, s[56:59], 0 offset:760 ; 4-byte Folded Spill
	v_fma_f64 v[98:99], v[6:7], v[96:97], v[0:1]
	;; [unrolled: 9-line block ×4, first 2 shown]
	v_lshlrev_b32_e32 v0, 6, v162
	global_load_dwordx4 v[2:5], v0, s[4:5] offset:2960
	global_load_dwordx4 v[6:9], v0, s[4:5] offset:2944
	;; [unrolled: 1-line block ×4, first 2 shown]
	s_waitcnt vmcnt(0)
	v_mul_f64 v[0:1], v[70:71], v[120:121]
	v_fma_f64 v[106:107], v[68:69], v[118:119], -v[0:1]
	v_mul_f64 v[0:1], v[68:69], v[120:121]
	buffer_store_dword v118, off, s[56:59], 0 offset:828 ; 4-byte Folded Spill
	s_nop 0
	buffer_store_dword v119, off, s[56:59], 0 offset:832 ; 4-byte Folded Spill
	buffer_store_dword v120, off, s[56:59], 0 offset:836 ; 4-byte Folded Spill
	;; [unrolled: 1-line block ×3, first 2 shown]
	v_fma_f64 v[114:115], v[70:71], v[118:119], v[0:1]
	v_mul_f64 v[0:1], v[78:79], v[12:13]
	v_fma_f64 v[124:125], v[76:77], v[10:11], -v[0:1]
	v_mul_f64 v[0:1], v[76:77], v[12:13]
	buffer_store_dword v10, off, s[56:59], 0 offset:812 ; 4-byte Folded Spill
	s_nop 0
	buffer_store_dword v11, off, s[56:59], 0 offset:816 ; 4-byte Folded Spill
	buffer_store_dword v12, off, s[56:59], 0 offset:820 ; 4-byte Folded Spill
	buffer_store_dword v13, off, s[56:59], 0 offset:824 ; 4-byte Folded Spill
	v_fma_f64 v[118:119], v[78:79], v[10:11], v[0:1]
	v_mul_f64 v[0:1], v[82:83], v[8:9]
	v_fma_f64 v[128:129], v[80:81], v[6:7], -v[0:1]
	v_mul_f64 v[0:1], v[80:81], v[8:9]
	buffer_store_dword v6, off, s[56:59], 0 offset:796 ; 4-byte Folded Spill
	s_nop 0
	buffer_store_dword v7, off, s[56:59], 0 offset:800 ; 4-byte Folded Spill
	buffer_store_dword v8, off, s[56:59], 0 offset:804 ; 4-byte Folded Spill
	;; [unrolled: 1-line block ×3, first 2 shown]
	v_mov_b32_e32 v80, s5
	v_fma_f64 v[120:121], v[82:83], v[6:7], v[0:1]
	v_mul_f64 v[0:1], v[132:133], v[4:5]
	v_fma_f64 v[164:165], v[130:131], v[2:3], -v[0:1]
	v_mul_f64 v[0:1], v[130:131], v[4:5]
	buffer_store_dword v2, off, s[56:59], 0 offset:780 ; 4-byte Folded Spill
	s_nop 0
	buffer_store_dword v3, off, s[56:59], 0 offset:784 ; 4-byte Folded Spill
	buffer_store_dword v4, off, s[56:59], 0 offset:788 ; 4-byte Folded Spill
	;; [unrolled: 1-line block ×3, first 2 shown]
	v_fma_f64 v[122:123], v[132:133], v[2:3], v[0:1]
	v_lshlrev_b64 v[0:1], 6, v[112:113]
	v_add_co_u32_e32 v0, vcc, s4, v0
	v_addc_co_u32_e32 v1, vcc, v80, v1, vcc
	global_load_dwordx4 v[2:5], v[0:1], off offset:2960
	global_load_dwordx4 v[6:9], v[0:1], off offset:2944
	;; [unrolled: 1-line block ×4, first 2 shown]
	s_waitcnt vmcnt(0) lgkmcnt(13)
	v_mul_f64 v[0:1], v[140:141], v[70:71]
	v_fma_f64 v[126:127], v[138:139], v[68:69], -v[0:1]
	v_mul_f64 v[0:1], v[138:139], v[70:71]
	buffer_store_dword v68, off, s[56:59], 0 offset:892 ; 4-byte Folded Spill
	s_nop 0
	buffer_store_dword v69, off, s[56:59], 0 offset:896 ; 4-byte Folded Spill
	buffer_store_dword v70, off, s[56:59], 0 offset:900 ; 4-byte Folded Spill
	buffer_store_dword v71, off, s[56:59], 0 offset:904 ; 4-byte Folded Spill
	v_fma_f64 v[130:131], v[140:141], v[68:69], v[0:1]
	s_waitcnt lgkmcnt(12)
	v_mul_f64 v[0:1], v[144:145], v[12:13]
	v_fma_f64 v[158:159], v[142:143], v[10:11], -v[0:1]
	v_mul_f64 v[0:1], v[142:143], v[12:13]
	buffer_store_dword v10, off, s[56:59], 0 offset:876 ; 4-byte Folded Spill
	s_nop 0
	buffer_store_dword v11, off, s[56:59], 0 offset:880 ; 4-byte Folded Spill
	buffer_store_dword v12, off, s[56:59], 0 offset:884 ; 4-byte Folded Spill
	buffer_store_dword v13, off, s[56:59], 0 offset:888 ; 4-byte Folded Spill
	v_fma_f64 v[154:155], v[144:145], v[10:11], v[0:1]
	s_waitcnt lgkmcnt(11)
	;; [unrolled: 10-line block ×3, first 2 shown]
	v_mul_f64 v[0:1], v[152:153], v[4:5]
	v_fma_f64 v[162:163], v[150:151], v[2:3], -v[0:1]
	v_mul_f64 v[0:1], v[150:151], v[4:5]
	buffer_store_dword v2, off, s[56:59], 0 offset:844 ; 4-byte Folded Spill
	s_nop 0
	buffer_store_dword v3, off, s[56:59], 0 offset:848 ; 4-byte Folded Spill
	buffer_store_dword v4, off, s[56:59], 0 offset:852 ; 4-byte Folded Spill
	buffer_store_dword v5, off, s[56:59], 0 offset:856 ; 4-byte Folded Spill
	v_fma_f64 v[156:157], v[152:153], v[2:3], v[0:1]
	v_lshlrev_b64 v[0:1], 6, v[110:111]
	v_add_co_u32_e32 v12, vcc, s4, v0
	v_addc_co_u32_e32 v13, vcc, v80, v1, vcc
	global_load_dwordx4 v[0:3], v[12:13], off offset:2960
	global_load_dwordx4 v[4:7], v[12:13], off offset:2944
	;; [unrolled: 1-line block ×3, first 2 shown]
	s_nop 0
	global_load_dwordx4 v[12:15], v[12:13], off offset:2912
	s_waitcnt vmcnt(0) lgkmcnt(8)
	v_mul_f64 v[68:69], v[30:31], v[14:15]
	v_fma_f64 v[142:143], v[28:29], v[12:13], -v[68:69]
	v_mul_f64 v[28:29], v[28:29], v[14:15]
	v_fma_f64 v[68:69], v[30:31], v[12:13], v[28:29]
	s_waitcnt lgkmcnt(7)
	v_mul_f64 v[28:29], v[26:27], v[10:11]
	v_fma_f64 v[206:207], v[24:25], v[8:9], -v[28:29]
	v_mul_f64 v[24:25], v[24:25], v[10:11]
	buffer_store_dword v8, off, s[56:59], 0 offset:940 ; 4-byte Folded Spill
	s_nop 0
	buffer_store_dword v9, off, s[56:59], 0 offset:944 ; 4-byte Folded Spill
	buffer_store_dword v10, off, s[56:59], 0 offset:948 ; 4-byte Folded Spill
	buffer_store_dword v11, off, s[56:59], 0 offset:952 ; 4-byte Folded Spill
	v_fma_f64 v[70:71], v[26:27], v[8:9], v[24:25]
	s_waitcnt lgkmcnt(6)
	v_mul_f64 v[24:25], v[22:23], v[6:7]
	v_fma_f64 v[144:145], v[20:21], v[4:5], -v[24:25]
	v_mul_f64 v[20:21], v[20:21], v[6:7]
	buffer_store_dword v4, off, s[56:59], 0 offset:924 ; 4-byte Folded Spill
	s_nop 0
	buffer_store_dword v5, off, s[56:59], 0 offset:928 ; 4-byte Folded Spill
	buffer_store_dword v6, off, s[56:59], 0 offset:932 ; 4-byte Folded Spill
	buffer_store_dword v7, off, s[56:59], 0 offset:936 ; 4-byte Folded Spill
	;; [unrolled: 10-line block ×3, first 2 shown]
	v_fma_f64 v[78:79], v[18:19], v[0:1], v[16:17]
	v_lshlrev_b64 v[16:17], 6, v[108:109]
	v_add_co_u32_e32 v28, vcc, s4, v16
	v_addc_co_u32_e32 v29, vcc, v80, v17, vcc
	global_load_dwordx4 v[16:19], v[28:29], off offset:2960
	global_load_dwordx4 v[20:23], v[28:29], off offset:2944
	;; [unrolled: 1-line block ×3, first 2 shown]
	s_nop 0
	global_load_dwordx4 v[28:31], v[28:29], off offset:2912
	s_mov_b32 s4, 0x372fe950
	s_mov_b32 s5, 0x3fd3c6ef
	s_waitcnt vmcnt(0) lgkmcnt(3)
	v_mul_f64 v[80:81], v[66:67], v[30:31]
	v_fma_f64 v[148:149], v[64:65], v[28:29], -v[80:81]
	v_mul_f64 v[64:65], v[64:65], v[30:31]
	v_fma_f64 v[132:133], v[66:67], v[28:29], v[64:65]
	s_waitcnt lgkmcnt(2)
	v_mul_f64 v[64:65], v[62:63], v[26:27]
	v_fma_f64 v[66:67], v[60:61], v[24:25], -v[64:65]
	v_mul_f64 v[60:61], v[60:61], v[26:27]
	v_add_f64 v[64:65], v[68:69], -v[70:71]
	v_fma_f64 v[134:135], v[62:63], v[24:25], v[60:61]
	s_waitcnt lgkmcnt(1)
	v_mul_f64 v[60:61], v[58:59], v[22:23]
	v_add_f64 v[62:63], v[116:117], -v[104:105]
	v_fma_f64 v[150:151], v[56:57], v[20:21], -v[60:61]
	v_mul_f64 v[56:57], v[56:57], v[22:23]
	v_add_f64 v[60:61], v[86:87], -v[90:91]
	v_fma_f64 v[138:139], v[58:59], v[20:21], v[56:57]
	s_waitcnt lgkmcnt(0)
	v_mul_f64 v[56:57], v[50:51], v[18:19]
	v_add_f64 v[58:59], v[98:99], -v[100:101]
	v_add_f64 v[60:61], v[60:61], v[62:63]
	v_add_f64 v[62:63], v[206:207], -v[144:145]
	v_fma_f64 v[152:153], v[48:49], v[16:17], -v[56:57]
	v_mul_f64 v[48:49], v[48:49], v[18:19]
	v_fma_f64 v[140:141], v[50:51], v[16:17], v[48:49]
	v_add_f64 v[48:49], v[44:45], v[86:87]
	v_add_f64 v[50:51], v[94:95], -v[102:103]
	v_add_f64 v[48:49], v[48:49], v[90:91]
	v_add_f64 v[48:49], v[48:49], v[104:105]
	;; [unrolled: 1-line block ×4, first 2 shown]
	v_fma_f64 v[48:49], v[48:49], -0.5, v[44:45]
	v_fma_f64 v[56:57], v[50:51], s[12:13], v[48:49]
	v_fma_f64 v[48:49], v[50:51], s[16:17], v[48:49]
	;; [unrolled: 1-line block ×6, first 2 shown]
	v_add_f64 v[48:49], v[86:87], v[116:117]
	v_add_f64 v[56:57], v[90:91], -v[86:87]
	v_add_f64 v[60:61], v[104:105], -v[116:117]
	v_fma_f64 v[44:45], v[48:49], -0.5, v[44:45]
	v_add_f64 v[56:57], v[56:57], v[60:61]
	v_add_f64 v[60:61], v[102:103], -v[100:101]
	v_fma_f64 v[48:49], v[58:59], s[16:17], v[44:45]
	v_fma_f64 v[44:45], v[58:59], s[12:13], v[44:45]
	v_add_f64 v[58:59], v[94:95], -v[98:99]
	v_fma_f64 v[48:49], v[50:51], s[6:7], v[48:49]
	v_fma_f64 v[44:45], v[50:51], s[18:19], v[44:45]
	v_add_f64 v[58:59], v[58:59], v[60:61]
	v_add_f64 v[60:61], v[146:147], -v[144:145]
	v_fma_f64 v[96:97], v[56:57], s[4:5], v[48:49]
	v_fma_f64 v[92:93], v[56:57], s[4:5], v[44:45]
	v_add_f64 v[44:45], v[46:47], v[94:95]
	v_add_f64 v[48:49], v[86:87], -v[116:117]
	v_add_f64 v[56:57], v[90:91], -v[104:105]
	v_add_f64 v[44:45], v[44:45], v[98:99]
	v_add_f64 v[44:45], v[44:45], v[100:101]
	v_add_f64 v[82:83], v[44:45], v[102:103]
	v_add_f64 v[44:45], v[98:99], v[100:101]
	v_fma_f64 v[44:45], v[44:45], -0.5, v[46:47]
	v_fma_f64 v[50:51], v[48:49], s[16:17], v[44:45]
	v_fma_f64 v[44:45], v[48:49], s[12:13], v[44:45]
	;; [unrolled: 1-line block ×6, first 2 shown]
	v_add_f64 v[44:45], v[94:95], v[102:103]
	v_add_f64 v[50:51], v[98:99], -v[94:95]
	v_add_f64 v[58:59], v[100:101], -v[102:103]
	v_fma_f64 v[44:45], v[44:45], -0.5, v[46:47]
	v_add_f64 v[50:51], v[50:51], v[58:59]
	v_add_f64 v[58:59], v[164:165], -v[128:129]
	v_fma_f64 v[46:47], v[56:57], s[12:13], v[44:45]
	v_fma_f64 v[44:45], v[56:57], s[16:17], v[44:45]
	v_add_f64 v[56:57], v[106:107], -v[124:125]
	v_fma_f64 v[46:47], v[48:49], s[18:19], v[46:47]
	v_fma_f64 v[44:45], v[48:49], s[6:7], v[44:45]
	v_add_f64 v[56:57], v[56:57], v[58:59]
	v_add_f64 v[58:59], v[142:143], -v[206:207]
	v_fma_f64 v[98:99], v[50:51], s[4:5], v[46:47]
	v_fma_f64 v[94:95], v[50:51], s[4:5], v[44:45]
	v_add_f64 v[44:45], v[36:37], v[106:107]
	v_add_f64 v[46:47], v[114:115], -v[122:123]
	v_add_f64 v[50:51], v[118:119], -v[120:121]
	v_add_f64 v[58:59], v[58:59], v[60:61]
	v_add_f64 v[60:61], v[144:145], -v[146:147]
	v_add_f64 v[44:45], v[44:45], v[124:125]
	v_add_f64 v[44:45], v[44:45], v[128:129]
	;; [unrolled: 1-line block ×4, first 2 shown]
	v_fma_f64 v[44:45], v[44:45], -0.5, v[36:37]
	v_fma_f64 v[48:49], v[46:47], s[12:13], v[44:45]
	v_fma_f64 v[44:45], v[46:47], s[16:17], v[44:45]
	;; [unrolled: 1-line block ×6, first 2 shown]
	v_add_f64 v[44:45], v[106:107], v[164:165]
	v_add_f64 v[48:49], v[124:125], -v[106:107]
	v_add_f64 v[56:57], v[128:129], -v[164:165]
	v_fma_f64 v[36:37], v[44:45], -0.5, v[36:37]
	v_add_f64 v[48:49], v[48:49], v[56:57]
	v_add_f64 v[56:57], v[122:123], -v[120:121]
	v_fma_f64 v[44:45], v[50:51], s[16:17], v[36:37]
	v_fma_f64 v[36:37], v[50:51], s[12:13], v[36:37]
	v_add_f64 v[50:51], v[114:115], -v[118:119]
	v_fma_f64 v[44:45], v[46:47], s[6:7], v[44:45]
	v_fma_f64 v[36:37], v[46:47], s[18:19], v[36:37]
	v_add_f64 v[50:51], v[50:51], v[56:57]
	v_add_f64 v[56:57], v[156:157], -v[204:205]
	v_fma_f64 v[116:117], v[48:49], s[4:5], v[44:45]
	v_fma_f64 v[112:113], v[48:49], s[4:5], v[36:37]
	v_add_f64 v[36:37], v[38:39], v[114:115]
	v_add_f64 v[44:45], v[106:107], -v[164:165]
	v_add_f64 v[48:49], v[124:125], -v[128:129]
	v_add_f64 v[36:37], v[36:37], v[118:119]
	v_add_f64 v[36:37], v[36:37], v[120:121]
	;; [unrolled: 1-line block ×4, first 2 shown]
	v_fma_f64 v[36:37], v[36:37], -0.5, v[38:39]
	v_fma_f64 v[46:47], v[44:45], s[16:17], v[36:37]
	v_fma_f64 v[36:37], v[44:45], s[12:13], v[36:37]
	;; [unrolled: 1-line block ×6, first 2 shown]
	v_add_f64 v[36:37], v[114:115], v[122:123]
	v_add_f64 v[46:47], v[118:119], -v[114:115]
	v_add_f64 v[50:51], v[120:121], -v[122:123]
	v_fma_f64 v[36:37], v[36:37], -0.5, v[38:39]
	v_add_f64 v[46:47], v[46:47], v[50:51]
	v_add_f64 v[50:51], v[162:163], -v[160:161]
	v_fma_f64 v[38:39], v[48:49], s[12:13], v[36:37]
	v_fma_f64 v[36:37], v[48:49], s[16:17], v[36:37]
	v_add_f64 v[48:49], v[126:127], -v[158:159]
	v_fma_f64 v[38:39], v[44:45], s[18:19], v[38:39]
	v_fma_f64 v[36:37], v[44:45], s[6:7], v[36:37]
	v_add_f64 v[48:49], v[48:49], v[50:51]
	v_add_f64 v[50:51], v[160:161], -v[162:163]
	v_fma_f64 v[118:119], v[46:47], s[4:5], v[38:39]
	v_fma_f64 v[114:115], v[46:47], s[4:5], v[36:37]
	v_add_f64 v[36:37], v[40:41], v[126:127]
	v_add_f64 v[38:39], v[130:131], -v[156:157]
	v_add_f64 v[46:47], v[154:155], -v[204:205]
	v_add_f64 v[36:37], v[36:37], v[158:159]
	v_add_f64 v[36:37], v[36:37], v[160:161]
	v_add_f64 v[120:121], v[36:37], v[162:163]
	v_add_f64 v[36:37], v[158:159], v[160:161]
	v_fma_f64 v[36:37], v[36:37], -0.5, v[40:41]
	v_fma_f64 v[44:45], v[38:39], s[12:13], v[36:37]
	v_fma_f64 v[36:37], v[38:39], s[16:17], v[36:37]
	;; [unrolled: 1-line block ×5, first 2 shown]
	v_add_f64 v[44:45], v[126:127], v[162:163]
	v_fma_f64 v[36:37], v[48:49], s[4:5], v[36:37]
	v_add_f64 v[48:49], v[158:159], -v[126:127]
	v_fma_f64 v[40:41], v[44:45], -0.5, v[40:41]
	v_add_f64 v[48:49], v[48:49], v[50:51]
	v_add_f64 v[50:51], v[130:131], -v[154:155]
	v_fma_f64 v[44:45], v[46:47], s[16:17], v[40:41]
	v_fma_f64 v[40:41], v[46:47], s[12:13], v[40:41]
	v_add_f64 v[50:51], v[50:51], v[56:57]
	v_add_f64 v[56:57], v[204:205], -v[156:157]
	v_fma_f64 v[44:45], v[38:39], s[6:7], v[44:45]
	v_fma_f64 v[38:39], v[38:39], s[18:19], v[40:41]
	v_fma_f64 v[128:129], v[48:49], s[4:5], v[44:45]
	v_fma_f64 v[40:41], v[48:49], s[4:5], v[38:39]
	v_add_f64 v[38:39], v[42:43], v[130:131]
	v_add_f64 v[44:45], v[126:127], -v[162:163]
	v_add_f64 v[48:49], v[158:159], -v[160:161]
	v_add_f64 v[38:39], v[38:39], v[154:155]
	v_add_f64 v[38:39], v[38:39], v[204:205]
	;; [unrolled: 1-line block ×4, first 2 shown]
	ds_write_b128 v176, v[80:83]
	ds_write_b128 v176, v[88:91] offset:3120
	ds_write_b128 v176, v[96:99] offset:6240
	;; [unrolled: 1-line block ×10, first 2 shown]
	v_fma_f64 v[38:39], v[38:39], -0.5, v[42:43]
	v_fma_f64 v[46:47], v[44:45], s[16:17], v[38:39]
	v_fma_f64 v[38:39], v[44:45], s[12:13], v[38:39]
	;; [unrolled: 1-line block ×5, first 2 shown]
	v_add_f64 v[46:47], v[130:131], v[156:157]
	v_fma_f64 v[38:39], v[50:51], s[4:5], v[38:39]
	v_add_f64 v[50:51], v[154:155], -v[130:131]
	v_fma_f64 v[42:43], v[46:47], -0.5, v[42:43]
	v_add_f64 v[50:51], v[50:51], v[56:57]
	v_add_f64 v[56:57], v[70:71], -v[76:77]
	v_fma_f64 v[46:47], v[48:49], s[12:13], v[42:43]
	v_fma_f64 v[42:43], v[48:49], s[16:17], v[42:43]
	;; [unrolled: 1-line block ×4, first 2 shown]
	v_add_f64 v[44:45], v[52:53], v[142:143]
	v_fma_f64 v[130:131], v[50:51], s[4:5], v[46:47]
	v_add_f64 v[46:47], v[206:207], v[144:145]
	v_fma_f64 v[42:43], v[50:51], s[4:5], v[42:43]
	v_add_f64 v[50:51], v[68:69], -v[78:79]
	v_add_f64 v[44:45], v[44:45], v[206:207]
	v_fma_f64 v[46:47], v[46:47], -0.5, v[52:53]
	v_add_f64 v[44:45], v[44:45], v[144:145]
	v_add_f64 v[144:145], v[66:67], -v[150:151]
	v_fma_f64 v[48:49], v[50:51], s[12:13], v[46:47]
	v_fma_f64 v[46:47], v[50:51], s[16:17], v[46:47]
	v_add_f64 v[44:45], v[44:45], v[146:147]
	v_fma_f64 v[48:49], v[56:57], s[6:7], v[48:49]
	v_fma_f64 v[46:47], v[56:57], s[18:19], v[46:47]
	;; [unrolled: 1-line block ×4, first 2 shown]
	v_add_f64 v[46:47], v[142:143], v[146:147]
	v_add_f64 v[58:59], v[206:207], -v[142:143]
	v_fma_f64 v[46:47], v[46:47], -0.5, v[52:53]
	v_add_f64 v[58:59], v[58:59], v[60:61]
	v_add_f64 v[60:61], v[142:143], -v[146:147]
	v_add_f64 v[142:143], v[78:79], -v[76:77]
	;; [unrolled: 1-line block ×3, first 2 shown]
	v_fma_f64 v[52:53], v[56:57], s[16:17], v[46:47]
	v_fma_f64 v[46:47], v[56:57], s[12:13], v[46:47]
	v_add_f64 v[64:65], v[64:65], v[142:143]
	v_add_f64 v[142:143], v[150:151], -v[152:153]
	v_fma_f64 v[52:53], v[50:51], s[6:7], v[52:53]
	v_fma_f64 v[46:47], v[50:51], s[18:19], v[46:47]
	v_add_f64 v[50:51], v[70:71], v[76:77]
	v_fma_f64 v[52:53], v[58:59], s[4:5], v[52:53]
	v_fma_f64 v[56:57], v[58:59], s[4:5], v[46:47]
	v_fma_f64 v[58:59], v[50:51], -0.5, v[54:55]
	v_add_f64 v[46:47], v[54:55], v[68:69]
	v_fma_f64 v[50:51], v[60:61], s[16:17], v[58:59]
	v_fma_f64 v[58:59], v[60:61], s[12:13], v[58:59]
	v_add_f64 v[46:47], v[46:47], v[70:71]
	v_fma_f64 v[50:51], v[62:63], s[18:19], v[50:51]
	v_fma_f64 v[58:59], v[62:63], s[6:7], v[58:59]
	;; [unrolled: 3-line block ×3, first 2 shown]
	v_add_f64 v[58:59], v[68:69], v[78:79]
	v_add_f64 v[64:65], v[70:71], -v[68:69]
	v_add_f64 v[68:69], v[76:77], -v[78:79]
	;; [unrolled: 1-line block ×3, first 2 shown]
	v_add_f64 v[46:47], v[46:47], v[78:79]
	v_add_f64 v[76:77], v[134:135], -v[138:139]
	v_add_f64 v[78:79], v[152:153], -v[150:151]
	v_fma_f64 v[58:59], v[58:59], -0.5, v[54:55]
	v_add_f64 v[64:65], v[64:65], v[68:69]
	v_add_f64 v[68:69], v[148:149], -v[66:67]
	v_fma_f64 v[54:55], v[62:63], s[12:13], v[58:59]
	v_fma_f64 v[58:59], v[62:63], s[16:17], v[58:59]
	v_add_f64 v[62:63], v[66:67], v[150:151]
	v_add_f64 v[68:69], v[68:69], v[78:79]
	v_add_f64 v[78:79], v[66:67], -v[148:149]
	v_fma_f64 v[54:55], v[60:61], s[18:19], v[54:55]
	v_fma_f64 v[58:59], v[60:61], s[6:7], v[58:59]
	v_fma_f64 v[62:63], v[62:63], -0.5, v[72:73]
	v_add_f64 v[60:61], v[72:73], v[148:149]
	v_add_f64 v[78:79], v[78:79], v[142:143]
	v_fma_f64 v[54:55], v[64:65], s[4:5], v[54:55]
	v_fma_f64 v[58:59], v[64:65], s[4:5], v[58:59]
	;; [unrolled: 1-line block ×4, first 2 shown]
	v_add_f64 v[60:61], v[60:61], v[66:67]
	v_fma_f64 v[64:65], v[76:77], s[6:7], v[64:65]
	v_fma_f64 v[62:63], v[76:77], s[18:19], v[62:63]
	v_add_f64 v[60:61], v[60:61], v[150:151]
	v_fma_f64 v[64:65], v[68:69], s[4:5], v[64:65]
	v_fma_f64 v[68:69], v[68:69], s[4:5], v[62:63]
	v_add_f64 v[62:63], v[148:149], v[152:153]
	v_add_f64 v[60:61], v[60:61], v[152:153]
	v_fma_f64 v[62:63], v[62:63], -0.5, v[72:73]
	v_fma_f64 v[72:73], v[76:77], s[16:17], v[62:63]
	v_fma_f64 v[62:63], v[76:77], s[12:13], v[62:63]
	;; [unrolled: 1-line block ×4, first 2 shown]
	v_add_f64 v[70:71], v[134:135], v[138:139]
	v_fma_f64 v[72:73], v[78:79], s[4:5], v[72:73]
	v_fma_f64 v[76:77], v[78:79], s[4:5], v[62:63]
	v_fma_f64 v[70:71], v[70:71], -0.5, v[74:75]
	v_add_f64 v[78:79], v[148:149], -v[152:153]
	v_add_f64 v[62:63], v[74:75], v[132:133]
	v_fma_f64 v[142:143], v[78:79], s[16:17], v[70:71]
	v_fma_f64 v[70:71], v[78:79], s[12:13], v[70:71]
	v_add_f64 v[62:63], v[62:63], v[134:135]
	v_fma_f64 v[66:67], v[144:145], s[18:19], v[142:143]
	v_add_f64 v[142:143], v[132:133], -v[134:135]
	v_fma_f64 v[70:71], v[144:145], s[6:7], v[70:71]
	v_add_f64 v[62:63], v[62:63], v[138:139]
	v_add_f64 v[142:143], v[142:143], v[146:147]
	;; [unrolled: 1-line block ×3, first 2 shown]
	v_fma_f64 v[66:67], v[142:143], s[4:5], v[66:67]
	v_fma_f64 v[70:71], v[142:143], s[4:5], v[70:71]
	v_add_f64 v[142:143], v[132:133], v[140:141]
	v_add_f64 v[132:133], v[134:135], -v[132:133]
	v_add_f64 v[134:135], v[138:139], -v[140:141]
	v_fma_f64 v[142:143], v[142:143], -0.5, v[74:75]
	v_add_f64 v[132:133], v[132:133], v[134:135]
	v_fma_f64 v[74:75], v[144:145], s[12:13], v[142:143]
	v_fma_f64 v[134:135], v[144:145], s[16:17], v[142:143]
	;; [unrolled: 1-line block ×4, first 2 shown]
	s_movk_i32 s6, 0x3000
	v_fma_f64 v[74:75], v[132:133], s[4:5], v[74:75]
	v_fma_f64 v[78:79], v[132:133], s[4:5], v[78:79]
	s_movk_i32 s4, 0x3cf0
	v_add_co_u32_e32 v80, vcc, s4, v136
	v_addc_co_u32_e32 v81, vcc, 0, v168, vcc
	v_add_co_u32_e32 v86, vcc, s6, v136
	v_addc_co_u32_e32 v87, vcc, 0, v168, vcc
	ds_write_b128 v178, v[124:127] offset:4368
	ds_write_b128 v178, v[128:131] offset:7488
	;; [unrolled: 1-line block ×14, first 2 shown]
	s_waitcnt lgkmcnt(0)
	s_barrier
	global_load_dwordx4 v[86:89], v[86:87], off offset:3312
	ds_read_b128 v[82:85], v176
	s_movk_i32 s4, 0x4000
	s_waitcnt vmcnt(0) lgkmcnt(0)
	v_mul_f64 v[90:91], v[84:85], v[88:89]
	v_fma_f64 v[90:91], v[82:83], v[86:87], -v[90:91]
	v_mul_f64 v[82:83], v[82:83], v[88:89]
	v_fma_f64 v[92:93], v[84:85], v[86:87], v[82:83]
	global_load_dwordx4 v[86:89], v[80:81], off offset:1200
	ds_read_b128 v[82:85], v176 offset:1200
	ds_write_b128 v176, v[90:93]
	s_waitcnt vmcnt(0) lgkmcnt(1)
	v_mul_f64 v[90:91], v[84:85], v[88:89]
	v_fma_f64 v[90:91], v[82:83], v[86:87], -v[90:91]
	v_mul_f64 v[82:83], v[82:83], v[88:89]
	v_fma_f64 v[92:93], v[84:85], v[86:87], v[82:83]
	global_load_dwordx4 v[86:89], v[80:81], off offset:2400
	ds_read_b128 v[82:85], v176 offset:2400
	ds_write_b128 v176, v[90:93] offset:1200
	s_waitcnt vmcnt(0) lgkmcnt(1)
	v_mul_f64 v[90:91], v[84:85], v[88:89]
	v_fma_f64 v[90:91], v[82:83], v[86:87], -v[90:91]
	v_mul_f64 v[82:83], v[82:83], v[88:89]
	v_fma_f64 v[92:93], v[84:85], v[86:87], v[82:83]
	global_load_dwordx4 v[86:89], v[80:81], off offset:3600
	ds_read_b128 v[82:85], v176 offset:3600
	ds_write_b128 v176, v[90:93] offset:2400
	s_waitcnt vmcnt(0) lgkmcnt(1)
	v_mul_f64 v[90:91], v[84:85], v[88:89]
	v_fma_f64 v[90:91], v[82:83], v[86:87], -v[90:91]
	v_mul_f64 v[82:83], v[82:83], v[88:89]
	v_fma_f64 v[92:93], v[84:85], v[86:87], v[82:83]
	v_add_co_u32_e32 v86, vcc, s4, v136
	v_addc_co_u32_e32 v87, vcc, 0, v168, vcc
	global_load_dwordx4 v[86:89], v[86:87], off offset:4016
	ds_read_b128 v[82:85], v176 offset:4800
	s_movk_i32 s4, 0x5000
	ds_write_b128 v176, v[90:93] offset:3600
	v_add_co_u32_e32 v94, vcc, s4, v136
	v_addc_co_u32_e32 v95, vcc, 0, v168, vcc
	s_movk_i32 s4, 0x6000
	s_waitcnt vmcnt(0) lgkmcnt(1)
	v_mul_f64 v[90:91], v[84:85], v[88:89]
	v_fma_f64 v[90:91], v[82:83], v[86:87], -v[90:91]
	v_mul_f64 v[82:83], v[82:83], v[88:89]
	v_fma_f64 v[92:93], v[84:85], v[86:87], v[82:83]
	global_load_dwordx4 v[86:89], v[94:95], off offset:1120
	ds_read_b128 v[82:85], v176 offset:6000
	ds_write_b128 v176, v[90:93] offset:4800
	s_waitcnt vmcnt(0) lgkmcnt(1)
	v_mul_f64 v[90:91], v[84:85], v[88:89]
	v_fma_f64 v[90:91], v[82:83], v[86:87], -v[90:91]
	v_mul_f64 v[82:83], v[82:83], v[88:89]
	v_fma_f64 v[92:93], v[84:85], v[86:87], v[82:83]
	global_load_dwordx4 v[86:89], v[94:95], off offset:2320
	ds_read_b128 v[82:85], v176 offset:7200
	ds_write_b128 v176, v[90:93] offset:6000
	s_waitcnt vmcnt(0) lgkmcnt(1)
	v_mul_f64 v[90:91], v[84:85], v[88:89]
	v_fma_f64 v[90:91], v[82:83], v[86:87], -v[90:91]
	v_mul_f64 v[82:83], v[82:83], v[88:89]
	v_fma_f64 v[92:93], v[84:85], v[86:87], v[82:83]
	global_load_dwordx4 v[86:89], v[94:95], off offset:3520
	ds_read_b128 v[82:85], v176 offset:8400
	v_add_co_u32_e32 v94, vcc, s4, v136
	v_addc_co_u32_e32 v95, vcc, 0, v168, vcc
	s_movk_i32 s4, 0x7000
	ds_write_b128 v176, v[90:93] offset:7200
	s_waitcnt vmcnt(0) lgkmcnt(1)
	v_mul_f64 v[90:91], v[84:85], v[88:89]
	v_fma_f64 v[90:91], v[82:83], v[86:87], -v[90:91]
	v_mul_f64 v[82:83], v[82:83], v[88:89]
	v_fma_f64 v[92:93], v[84:85], v[86:87], v[82:83]
	global_load_dwordx4 v[86:89], v[94:95], off offset:624
	ds_read_b128 v[82:85], v176 offset:9600
	ds_write_b128 v176, v[90:93] offset:8400
	s_waitcnt vmcnt(0) lgkmcnt(1)
	v_mul_f64 v[90:91], v[84:85], v[88:89]
	v_fma_f64 v[90:91], v[82:83], v[86:87], -v[90:91]
	v_mul_f64 v[82:83], v[82:83], v[88:89]
	v_fma_f64 v[92:93], v[84:85], v[86:87], v[82:83]
	global_load_dwordx4 v[86:89], v[94:95], off offset:1824
	ds_read_b128 v[82:85], v176 offset:10800
	;; [unrolled: 8-line block ×3, first 2 shown]
	v_add_co_u32_e32 v94, vcc, s4, v136
	v_addc_co_u32_e32 v95, vcc, 0, v168, vcc
	ds_write_b128 v176, v[90:93] offset:10800
	s_waitcnt vmcnt(0) lgkmcnt(1)
	v_mul_f64 v[90:91], v[84:85], v[88:89]
	v_fma_f64 v[90:91], v[82:83], v[86:87], -v[90:91]
	v_mul_f64 v[82:83], v[82:83], v[88:89]
	v_fma_f64 v[92:93], v[84:85], v[86:87], v[82:83]
	global_load_dwordx4 v[86:89], v[94:95], off offset:128
	ds_read_b128 v[82:85], v176 offset:13200
	ds_write_b128 v176, v[90:93] offset:12000
	s_waitcnt vmcnt(0) lgkmcnt(1)
	v_mul_f64 v[90:91], v[84:85], v[88:89]
	v_fma_f64 v[90:91], v[82:83], v[86:87], -v[90:91]
	v_mul_f64 v[82:83], v[82:83], v[88:89]
	v_fma_f64 v[92:93], v[84:85], v[86:87], v[82:83]
	global_load_dwordx4 v[86:89], v[94:95], off offset:1328
	ds_read_b128 v[82:85], v176 offset:14400
	ds_write_b128 v176, v[90:93] offset:13200
	s_waitcnt vmcnt(0) lgkmcnt(1)
	v_mul_f64 v[90:91], v[84:85], v[88:89]
	v_fma_f64 v[90:91], v[82:83], v[86:87], -v[90:91]
	v_mul_f64 v[82:83], v[82:83], v[88:89]
	v_fma_f64 v[92:93], v[84:85], v[86:87], v[82:83]
	ds_write_b128 v176, v[90:93] offset:14400
	s_and_saveexec_b64 s[4:5], s[0:1]
	s_cbranch_execz .LBB0_13
; %bb.12:
	global_load_dwordx4 v[86:89], v[80:81], off offset:624
	ds_read_b128 v[82:85], v176 offset:624
	s_movk_i32 s7, 0x1000
	v_add_co_u32_e32 v94, vcc, s7, v80
	v_addc_co_u32_e32 v95, vcc, 0, v81, vcc
	s_movk_i32 s7, 0x2000
	s_waitcnt vmcnt(0) lgkmcnt(0)
	v_mul_f64 v[90:91], v[84:85], v[88:89]
	v_fma_f64 v[90:91], v[82:83], v[86:87], -v[90:91]
	v_mul_f64 v[82:83], v[82:83], v[88:89]
	v_fma_f64 v[92:93], v[84:85], v[86:87], v[82:83]
	global_load_dwordx4 v[86:89], v[80:81], off offset:1824
	ds_read_b128 v[82:85], v176 offset:1824
	ds_write_b128 v176, v[90:93] offset:624
	s_waitcnt vmcnt(0) lgkmcnt(1)
	v_mul_f64 v[90:91], v[84:85], v[88:89]
	v_fma_f64 v[90:91], v[82:83], v[86:87], -v[90:91]
	v_mul_f64 v[82:83], v[82:83], v[88:89]
	v_fma_f64 v[92:93], v[84:85], v[86:87], v[82:83]
	global_load_dwordx4 v[86:89], v[80:81], off offset:3024
	ds_read_b128 v[82:85], v176 offset:3024
	ds_write_b128 v176, v[90:93] offset:1824
	s_waitcnt vmcnt(0) lgkmcnt(1)
	v_mul_f64 v[90:91], v[84:85], v[88:89]
	v_fma_f64 v[90:91], v[82:83], v[86:87], -v[90:91]
	v_mul_f64 v[82:83], v[82:83], v[88:89]
	v_fma_f64 v[92:93], v[84:85], v[86:87], v[82:83]
	global_load_dwordx4 v[86:89], v[94:95], off offset:128
	ds_read_b128 v[82:85], v176 offset:4224
	ds_write_b128 v176, v[90:93] offset:3024
	s_waitcnt vmcnt(0) lgkmcnt(1)
	v_mul_f64 v[90:91], v[84:85], v[88:89]
	v_fma_f64 v[90:91], v[82:83], v[86:87], -v[90:91]
	v_mul_f64 v[82:83], v[82:83], v[88:89]
	v_fma_f64 v[92:93], v[84:85], v[86:87], v[82:83]
	global_load_dwordx4 v[86:89], v[94:95], off offset:1328
	ds_read_b128 v[82:85], v176 offset:5424
	ds_write_b128 v176, v[90:93] offset:4224
	s_waitcnt vmcnt(0) lgkmcnt(1)
	v_mul_f64 v[90:91], v[84:85], v[88:89]
	v_fma_f64 v[90:91], v[82:83], v[86:87], -v[90:91]
	v_mul_f64 v[82:83], v[82:83], v[88:89]
	v_fma_f64 v[92:93], v[84:85], v[86:87], v[82:83]
	global_load_dwordx4 v[86:89], v[94:95], off offset:2528
	ds_read_b128 v[82:85], v176 offset:6624
	ds_write_b128 v176, v[90:93] offset:5424
	s_waitcnt vmcnt(0) lgkmcnt(1)
	v_mul_f64 v[90:91], v[84:85], v[88:89]
	v_fma_f64 v[90:91], v[82:83], v[86:87], -v[90:91]
	v_mul_f64 v[82:83], v[82:83], v[88:89]
	v_fma_f64 v[92:93], v[84:85], v[86:87], v[82:83]
	global_load_dwordx4 v[86:89], v[94:95], off offset:3728
	ds_read_b128 v[82:85], v176 offset:7824
	v_add_co_u32_e32 v94, vcc, s7, v80
	v_addc_co_u32_e32 v95, vcc, 0, v81, vcc
	ds_write_b128 v176, v[90:93] offset:6624
	s_waitcnt vmcnt(0) lgkmcnt(1)
	v_mul_f64 v[90:91], v[84:85], v[88:89]
	v_fma_f64 v[90:91], v[82:83], v[86:87], -v[90:91]
	v_mul_f64 v[82:83], v[82:83], v[88:89]
	v_fma_f64 v[92:93], v[84:85], v[86:87], v[82:83]
	global_load_dwordx4 v[86:89], v[94:95], off offset:832
	ds_read_b128 v[82:85], v176 offset:9024
	ds_write_b128 v176, v[90:93] offset:7824
	s_waitcnt vmcnt(0) lgkmcnt(1)
	v_mul_f64 v[90:91], v[84:85], v[88:89]
	v_fma_f64 v[90:91], v[82:83], v[86:87], -v[90:91]
	v_mul_f64 v[82:83], v[82:83], v[88:89]
	v_fma_f64 v[92:93], v[84:85], v[86:87], v[82:83]
	global_load_dwordx4 v[86:89], v[94:95], off offset:2032
	ds_read_b128 v[82:85], v176 offset:10224
	;; [unrolled: 8-line block ×3, first 2 shown]
	ds_write_b128 v176, v[90:93] offset:10224
	s_waitcnt vmcnt(0) lgkmcnt(1)
	v_mul_f64 v[90:91], v[84:85], v[88:89]
	v_fma_f64 v[90:91], v[82:83], v[86:87], -v[90:91]
	v_mul_f64 v[82:83], v[82:83], v[88:89]
	v_fma_f64 v[92:93], v[84:85], v[86:87], v[82:83]
	ds_read_b128 v[82:85], v176 offset:12624
	ds_write_b128 v176, v[90:93] offset:11424
	v_add_co_u32_e32 v92, vcc, s6, v80
	v_addc_co_u32_e32 v93, vcc, 0, v81, vcc
	global_load_dwordx4 v[86:89], v[92:93], off offset:336
	s_waitcnt vmcnt(0) lgkmcnt(1)
	v_mul_f64 v[80:81], v[84:85], v[88:89]
	v_fma_f64 v[80:81], v[82:83], v[86:87], -v[80:81]
	v_mul_f64 v[82:83], v[82:83], v[88:89]
	v_fma_f64 v[82:83], v[84:85], v[86:87], v[82:83]
	global_load_dwordx4 v[84:87], v[92:93], off offset:1536
	ds_write_b128 v176, v[80:83] offset:12624
	ds_read_b128 v[80:83], v176 offset:13824
	s_waitcnt vmcnt(0) lgkmcnt(0)
	v_mul_f64 v[88:89], v[82:83], v[86:87]
	v_fma_f64 v[88:89], v[80:81], v[84:85], -v[88:89]
	v_mul_f64 v[80:81], v[80:81], v[86:87]
	v_fma_f64 v[90:91], v[82:83], v[84:85], v[80:81]
	global_load_dwordx4 v[84:87], v[92:93], off offset:2736
	ds_read_b128 v[80:83], v176 offset:15024
	ds_write_b128 v176, v[88:91] offset:13824
	s_waitcnt vmcnt(0) lgkmcnt(1)
	v_mul_f64 v[88:89], v[82:83], v[86:87]
	v_fma_f64 v[88:89], v[80:81], v[84:85], -v[88:89]
	v_mul_f64 v[80:81], v[80:81], v[86:87]
	v_fma_f64 v[90:91], v[82:83], v[84:85], v[80:81]
	ds_write_b128 v176, v[88:91] offset:15024
.LBB0_13:
	s_or_b64 exec, exec, s[4:5]
	s_waitcnt lgkmcnt(0)
	s_barrier
	ds_read_b128 v[124:127], v176
	ds_read_b128 v[128:131], v176 offset:1200
	ds_read_b128 v[116:119], v176 offset:2400
	;; [unrolled: 1-line block ×12, first 2 shown]
	s_and_saveexec_b64 s[4:5], s[0:1]
	s_cbranch_execz .LBB0_15
; %bb.14:
	v_lshl_add_u32 v32, v232, 4, v177
	ds_read_b128 v[40:43], v176 offset:624
	ds_read_b128 v[36:39], v32 offset:1824
	;; [unrolled: 1-line block ×13, first 2 shown]
.LBB0_15:
	s_or_b64 exec, exec, s[4:5]
	s_waitcnt lgkmcnt(11)
	v_add_f64 v[84:85], v[124:125], v[128:129]
	v_add_f64 v[86:87], v[126:127], v[130:131]
	s_waitcnt lgkmcnt(0)
	v_add_f64 v[140:141], v[130:131], v[134:135]
	v_add_f64 v[130:131], v[130:131], -v[134:135]
	s_mov_b32 s44, 0x4267c47c
	s_mov_b32 s22, 0x42a4c3d2
	;; [unrolled: 1-line block ×4, first 2 shown]
	v_add_f64 v[84:85], v[84:85], v[116:117]
	v_add_f64 v[86:87], v[86:87], v[118:119]
	s_mov_b32 s36, 0x24c2f84
	s_mov_b32 s40, 0x4bc48dbf
	;; [unrolled: 1-line block ×6, first 2 shown]
	v_add_f64 v[84:85], v[84:85], v[108:109]
	v_add_f64 v[86:87], v[86:87], v[110:111]
	s_mov_b32 s37, 0xbfe5384d
	s_mov_b32 s41, 0xbfcea1e5
	v_add_f64 v[138:139], v[128:129], v[132:133]
	v_add_f64 v[128:129], v[128:129], -v[132:133]
	v_mul_f64 v[146:147], v[130:131], s[22:23]
	v_mul_f64 v[154:155], v[130:131], s[28:29]
	v_add_f64 v[84:85], v[84:85], v[100:101]
	v_add_f64 v[86:87], v[86:87], v[102:103]
	v_mul_f64 v[162:163], v[130:131], s[24:25]
	v_mul_f64 v[170:171], v[130:131], s[36:37]
	s_mov_b32 s4, 0xe00740e9
	s_mov_b32 s12, 0x1ea71119
	;; [unrolled: 1-line block ×4, first 2 shown]
	v_add_f64 v[84:85], v[84:85], v[92:93]
	v_add_f64 v[86:87], v[86:87], v[94:95]
	s_mov_b32 s34, 0x93053d00
	s_mov_b32 s5, 0x3fec55a7
	;; [unrolled: 1-line block ×6, first 2 shown]
	v_add_f64 v[84:85], v[84:85], v[80:81]
	v_add_f64 v[86:87], v[86:87], v[82:83]
	v_mul_f64 v[142:143], v[140:141], s[4:5]
	v_fma_f64 v[148:149], v[138:139], s[12:13], v[146:147]
	v_mul_f64 v[150:151], v[140:141], s[12:13]
	v_fma_f64 v[146:147], v[138:139], s[12:13], -v[146:147]
	v_fma_f64 v[156:157], v[138:139], s[16:17], v[154:155]
	v_mul_f64 v[158:159], v[140:141], s[16:17]
	v_add_f64 v[84:85], v[84:85], v[88:89]
	v_add_f64 v[86:87], v[86:87], v[90:91]
	v_fma_f64 v[154:155], v[138:139], s[16:17], -v[154:155]
	v_fma_f64 v[164:165], v[138:139], s[20:21], v[162:163]
	v_mul_f64 v[166:167], v[140:141], s[20:21]
	v_fma_f64 v[162:163], v[138:139], s[20:21], -v[162:163]
	v_fma_f64 v[172:173], v[138:139], s[26:27], v[170:171]
	v_mul_f64 v[179:180], v[140:141], s[26:27]
	v_add_f64 v[84:85], v[84:85], v[96:97]
	v_add_f64 v[86:87], v[86:87], v[98:99]
	v_fma_f64 v[170:171], v[138:139], s[26:27], -v[170:171]
	v_mul_f64 v[140:141], v[140:141], s[34:35]
	s_mov_b32 s7, 0x3fddbe06
	s_mov_b32 s6, s44
	;; [unrolled: 1-line block ×4, first 2 shown]
	v_add_f64 v[84:85], v[84:85], v[104:105]
	v_add_f64 v[86:87], v[86:87], v[106:107]
	s_mov_b32 s19, 0x3fefc445
	s_mov_b32 s18, s28
	;; [unrolled: 1-line block ×6, first 2 shown]
	v_add_f64 v[84:85], v[84:85], v[112:113]
	v_add_f64 v[86:87], v[86:87], v[114:115]
	s_mov_b32 s47, 0x3fcea1e5
	s_mov_b32 s46, s40
	v_fma_f64 v[144:145], v[128:129], s[6:7], v[142:143]
	v_fma_f64 v[142:143], v[128:129], s[44:45], v[142:143]
	v_add_f64 v[148:149], v[124:125], v[148:149]
	v_fma_f64 v[152:153], v[128:129], s[38:39], v[150:151]
	v_add_f64 v[84:85], v[84:85], v[120:121]
	v_add_f64 v[86:87], v[86:87], v[122:123]
	;; [unrolled: 1-line block ×3, first 2 shown]
	v_fma_f64 v[150:151], v[128:129], s[22:23], v[150:151]
	v_add_f64 v[156:157], v[124:125], v[156:157]
	v_fma_f64 v[160:161], v[128:129], s[18:19], v[158:159]
	v_add_f64 v[154:155], v[124:125], v[154:155]
	;; [unrolled: 2-line block ×3, first 2 shown]
	v_mul_f64 v[132:133], v[130:131], s[44:45]
	v_mul_f64 v[130:131], v[130:131], s[40:41]
	v_add_f64 v[86:87], v[86:87], v[134:135]
	v_add_f64 v[164:165], v[124:125], v[164:165]
	v_fma_f64 v[168:169], v[128:129], s[42:43], v[166:167]
	v_add_f64 v[162:163], v[124:125], v[162:163]
	v_fma_f64 v[166:167], v[128:129], s[24:25], v[166:167]
	;; [unrolled: 2-line block ×3, first 2 shown]
	v_fma_f64 v[132:133], v[138:139], s[4:5], -v[132:133]
	v_fma_f64 v[183:184], v[138:139], s[34:35], v[130:131]
	v_fma_f64 v[130:131], v[138:139], s[34:35], -v[130:131]
	v_fma_f64 v[181:182], v[128:129], s[30:31], v[179:180]
	v_add_f64 v[170:171], v[124:125], v[170:171]
	v_fma_f64 v[179:180], v[128:129], s[36:37], v[179:180]
	v_fma_f64 v[185:186], v[128:129], s[46:47], v[140:141]
	v_add_f64 v[134:135], v[124:125], v[134:135]
	v_add_f64 v[132:133], v[124:125], v[132:133]
	;; [unrolled: 1-line block ×4, first 2 shown]
	v_fma_f64 v[128:129], v[128:129], s[40:41], v[140:141]
	v_add_f64 v[130:131], v[118:119], v[122:123]
	v_add_f64 v[118:119], v[118:119], -v[122:123]
	v_add_f64 v[144:145], v[126:127], v[144:145]
	v_add_f64 v[142:143], v[126:127], v[142:143]
	;; [unrolled: 1-line block ×13, first 2 shown]
	v_add_f64 v[116:117], v[116:117], -v[120:121]
	v_mul_f64 v[120:121], v[118:119], s[22:23]
	s_barrier
	v_fma_f64 v[122:123], v[128:129], s[12:13], v[120:121]
	v_fma_f64 v[120:121], v[128:129], s[12:13], -v[120:121]
	v_add_f64 v[122:123], v[122:123], v[134:135]
	v_mul_f64 v[134:135], v[130:131], s[12:13]
	v_add_f64 v[120:121], v[120:121], v[132:133]
	v_fma_f64 v[138:139], v[116:117], s[38:39], v[134:135]
	v_fma_f64 v[132:133], v[116:117], s[22:23], v[134:135]
	v_mul_f64 v[134:135], v[118:119], s[24:25]
	v_add_f64 v[138:139], v[138:139], v[144:145]
	v_add_f64 v[132:133], v[132:133], v[142:143]
	v_fma_f64 v[140:141], v[128:129], s[20:21], v[134:135]
	v_mul_f64 v[142:143], v[130:131], s[20:21]
	v_fma_f64 v[134:135], v[128:129], s[20:21], -v[134:135]
	v_add_f64 v[140:141], v[140:141], v[148:149]
	v_fma_f64 v[144:145], v[116:117], s[42:43], v[142:143]
	v_add_f64 v[134:135], v[134:135], v[146:147]
	v_fma_f64 v[142:143], v[116:117], s[24:25], v[142:143]
	v_mul_f64 v[146:147], v[118:119], s[40:41]
	v_add_f64 v[144:145], v[144:145], v[152:153]
	v_add_f64 v[142:143], v[142:143], v[150:151]
	v_fma_f64 v[148:149], v[128:129], s[34:35], v[146:147]
	v_mul_f64 v[150:151], v[130:131], s[34:35]
	v_fma_f64 v[146:147], v[128:129], s[34:35], -v[146:147]
	v_add_f64 v[148:149], v[148:149], v[156:157]
	v_fma_f64 v[152:153], v[116:117], s[46:47], v[150:151]
	v_add_f64 v[146:147], v[146:147], v[154:155]
	;; [unrolled: 10-line block ×3, first 2 shown]
	v_fma_f64 v[158:159], v[116:117], s[30:31], v[158:159]
	v_mul_f64 v[162:163], v[118:119], s[18:19]
	v_mul_f64 v[118:119], v[118:119], s[6:7]
	v_add_f64 v[160:161], v[160:161], v[168:169]
	v_add_f64 v[158:159], v[158:159], v[166:167]
	v_fma_f64 v[164:165], v[128:129], s[16:17], v[162:163]
	v_mul_f64 v[166:167], v[130:131], s[16:17]
	v_mul_f64 v[130:131], v[130:131], s[4:5]
	v_fma_f64 v[162:163], v[128:129], s[16:17], -v[162:163]
	v_add_f64 v[164:165], v[164:165], v[172:173]
	v_fma_f64 v[168:169], v[116:117], s[28:29], v[166:167]
	v_fma_f64 v[166:167], v[116:117], s[18:19], v[166:167]
	;; [unrolled: 1-line block ×4, first 2 shown]
	v_add_f64 v[162:163], v[162:163], v[170:171]
	v_fma_f64 v[170:171], v[128:129], s[4:5], v[118:119]
	v_fma_f64 v[118:119], v[128:129], s[4:5], -v[118:119]
	v_add_f64 v[168:169], v[168:169], v[181:182]
	v_add_f64 v[166:167], v[166:167], v[179:180]
	;; [unrolled: 1-line block ×5, first 2 shown]
	v_add_f64 v[110:111], v[110:111], -v[114:115]
	v_add_f64 v[118:119], v[118:119], v[124:125]
	v_add_f64 v[124:125], v[108:109], v[112:113]
	v_add_f64 v[108:109], v[108:109], -v[112:113]
	v_add_f64 v[170:171], v[170:171], v[183:184]
	v_mul_f64 v[112:113], v[110:111], s[28:29]
	v_fma_f64 v[114:115], v[124:125], s[16:17], v[112:113]
	v_fma_f64 v[112:113], v[124:125], s[16:17], -v[112:113]
	v_add_f64 v[114:115], v[114:115], v[122:123]
	v_mul_f64 v[122:123], v[126:127], s[16:17]
	v_add_f64 v[112:113], v[112:113], v[120:121]
	v_fma_f64 v[128:129], v[108:109], s[18:19], v[122:123]
	v_fma_f64 v[120:121], v[108:109], s[28:29], v[122:123]
	v_mul_f64 v[122:123], v[110:111], s[40:41]
	v_add_f64 v[128:129], v[128:129], v[138:139]
	v_add_f64 v[120:121], v[120:121], v[132:133]
	v_fma_f64 v[130:131], v[124:125], s[34:35], v[122:123]
	v_fma_f64 v[122:123], v[124:125], s[34:35], -v[122:123]
	v_mul_f64 v[132:133], v[126:127], s[34:35]
	v_add_f64 v[130:131], v[130:131], v[140:141]
	v_add_f64 v[122:123], v[122:123], v[134:135]
	v_mul_f64 v[134:135], v[110:111], s[42:43]
	v_fma_f64 v[138:139], v[108:109], s[46:47], v[132:133]
	v_fma_f64 v[132:133], v[108:109], s[40:41], v[132:133]
	;; [unrolled: 1-line block ×3, first 2 shown]
	v_fma_f64 v[134:135], v[124:125], s[20:21], -v[134:135]
	v_add_f64 v[132:133], v[132:133], v[142:143]
	v_mul_f64 v[142:143], v[126:127], s[20:21]
	v_add_f64 v[138:139], v[138:139], v[144:145]
	v_add_f64 v[140:141], v[140:141], v[148:149]
	;; [unrolled: 1-line block ×3, first 2 shown]
	v_mul_f64 v[146:147], v[110:111], s[6:7]
	v_fma_f64 v[144:145], v[108:109], s[24:25], v[142:143]
	v_fma_f64 v[142:143], v[108:109], s[42:43], v[142:143]
	;; [unrolled: 1-line block ×3, first 2 shown]
	v_fma_f64 v[146:147], v[124:125], s[4:5], -v[146:147]
	v_add_f64 v[142:143], v[142:143], v[150:151]
	v_mul_f64 v[150:151], v[126:127], s[4:5]
	v_add_f64 v[144:145], v[144:145], v[152:153]
	v_add_f64 v[148:149], v[148:149], v[156:157]
	;; [unrolled: 1-line block ×3, first 2 shown]
	v_mul_f64 v[154:155], v[110:111], s[22:23]
	v_fma_f64 v[152:153], v[108:109], s[44:45], v[150:151]
	v_fma_f64 v[150:151], v[108:109], s[6:7], v[150:151]
	v_mul_f64 v[110:111], v[110:111], s[36:37]
	v_fma_f64 v[156:157], v[124:125], s[12:13], v[154:155]
	v_fma_f64 v[154:155], v[124:125], s[12:13], -v[154:155]
	v_add_f64 v[150:151], v[150:151], v[158:159]
	v_mul_f64 v[158:159], v[126:127], s[12:13]
	v_mul_f64 v[126:127], v[126:127], s[26:27]
	v_add_f64 v[152:153], v[152:153], v[160:161]
	v_add_f64 v[156:157], v[156:157], v[164:165]
	;; [unrolled: 1-line block ×3, first 2 shown]
	v_fma_f64 v[162:163], v[124:125], s[26:27], v[110:111]
	v_fma_f64 v[110:111], v[124:125], s[26:27], -v[110:111]
	v_fma_f64 v[160:161], v[108:109], s[38:39], v[158:159]
	v_fma_f64 v[158:159], v[108:109], s[22:23], v[158:159]
	;; [unrolled: 1-line block ×4, first 2 shown]
	v_add_f64 v[162:163], v[162:163], v[170:171]
	v_add_f64 v[110:111], v[110:111], v[118:119]
	;; [unrolled: 1-line block ×3, first 2 shown]
	v_add_f64 v[102:103], v[102:103], -v[106:107]
	v_add_f64 v[158:159], v[158:159], v[166:167]
	v_add_f64 v[108:109], v[108:109], v[116:117]
	;; [unrolled: 1-line block ×3, first 2 shown]
	v_add_f64 v[100:101], v[100:101], -v[104:105]
	v_add_f64 v[164:165], v[164:165], v[172:173]
	v_add_f64 v[160:161], v[160:161], v[168:169]
	v_mul_f64 v[126:127], v[118:119], s[26:27]
	v_mul_f64 v[104:105], v[102:103], s[24:25]
	v_add_f64 v[168:169], v[52:53], -v[72:73]
	v_add_f64 v[170:171], v[56:57], -v[64:65]
	;; [unrolled: 1-line block ×4, first 2 shown]
	v_fma_f64 v[106:107], v[116:117], s[20:21], v[104:105]
	v_fma_f64 v[104:105], v[116:117], s[20:21], -v[104:105]
	v_add_f64 v[106:107], v[106:107], v[114:115]
	v_mul_f64 v[114:115], v[118:119], s[20:21]
	v_add_f64 v[104:105], v[104:105], v[112:113]
	v_fma_f64 v[124:125], v[100:101], s[42:43], v[114:115]
	v_fma_f64 v[112:113], v[100:101], s[24:25], v[114:115]
	v_mul_f64 v[114:115], v[102:103], s[30:31]
	v_add_f64 v[124:125], v[124:125], v[128:129]
	v_add_f64 v[112:113], v[112:113], v[120:121]
	v_fma_f64 v[120:121], v[116:117], s[26:27], v[114:115]
	v_fma_f64 v[114:115], v[116:117], s[26:27], -v[114:115]
	v_fma_f64 v[128:129], v[100:101], s[36:37], v[126:127]
	v_add_f64 v[120:121], v[120:121], v[130:131]
	v_add_f64 v[114:115], v[114:115], v[122:123]
	v_fma_f64 v[122:123], v[100:101], s[30:31], v[126:127]
	v_mul_f64 v[126:127], v[102:103], s[6:7]
	v_add_f64 v[128:129], v[128:129], v[138:139]
	v_add_f64 v[122:123], v[122:123], v[132:133]
	v_fma_f64 v[130:131], v[116:117], s[4:5], v[126:127]
	v_fma_f64 v[126:127], v[116:117], s[4:5], -v[126:127]
	v_mul_f64 v[132:133], v[118:119], s[4:5]
	v_add_f64 v[130:131], v[130:131], v[140:141]
	v_add_f64 v[126:127], v[126:127], v[134:135]
	v_mul_f64 v[134:135], v[102:103], s[28:29]
	v_fma_f64 v[138:139], v[100:101], s[44:45], v[132:133]
	v_fma_f64 v[132:133], v[100:101], s[6:7], v[132:133]
	;; [unrolled: 1-line block ×3, first 2 shown]
	v_fma_f64 v[134:135], v[116:117], s[16:17], -v[134:135]
	v_add_f64 v[132:133], v[132:133], v[142:143]
	v_mul_f64 v[142:143], v[118:119], s[16:17]
	v_add_f64 v[138:139], v[138:139], v[144:145]
	v_add_f64 v[140:141], v[140:141], v[148:149]
	;; [unrolled: 1-line block ×3, first 2 shown]
	v_mul_f64 v[146:147], v[102:103], s[46:47]
	v_fma_f64 v[144:145], v[100:101], s[18:19], v[142:143]
	v_fma_f64 v[142:143], v[100:101], s[28:29], v[142:143]
	v_mul_f64 v[102:103], v[102:103], s[38:39]
	v_fma_f64 v[148:149], v[116:117], s[34:35], v[146:147]
	v_fma_f64 v[146:147], v[116:117], s[34:35], -v[146:147]
	v_add_f64 v[142:143], v[142:143], v[150:151]
	v_mul_f64 v[150:151], v[118:119], s[34:35]
	v_mul_f64 v[118:119], v[118:119], s[12:13]
	v_add_f64 v[144:145], v[144:145], v[152:153]
	v_add_f64 v[148:149], v[148:149], v[156:157]
	;; [unrolled: 1-line block ×3, first 2 shown]
	v_fma_f64 v[154:155], v[116:117], s[12:13], v[102:103]
	v_fma_f64 v[102:103], v[116:117], s[12:13], -v[102:103]
	v_fma_f64 v[152:153], v[100:101], s[40:41], v[150:151]
	v_fma_f64 v[150:151], v[100:101], s[46:47], v[150:151]
	;; [unrolled: 1-line block ×4, first 2 shown]
	v_add_f64 v[154:155], v[154:155], v[162:163]
	v_add_f64 v[102:103], v[102:103], v[110:111]
	;; [unrolled: 1-line block ×3, first 2 shown]
	v_add_f64 v[94:95], v[94:95], -v[98:99]
	v_add_f64 v[150:151], v[150:151], v[158:159]
	v_add_f64 v[100:101], v[100:101], v[108:109]
	;; [unrolled: 1-line block ×3, first 2 shown]
	v_add_f64 v[92:93], v[92:93], -v[96:97]
	v_add_f64 v[156:157], v[156:157], v[164:165]
	v_add_f64 v[152:153], v[152:153], v[160:161]
	v_mul_f64 v[118:119], v[110:111], s[16:17]
	v_mul_f64 v[96:97], v[94:95], s[36:37]
	v_add_f64 v[164:165], v[48:49], -v[76:77]
	v_add_f64 v[162:163], v[206:207], v[62:63]
	v_mul_f64 v[158:159], v[166:167], s[40:41]
	v_fma_f64 v[98:99], v[108:109], s[26:27], v[96:97]
	v_fma_f64 v[96:97], v[108:109], s[26:27], -v[96:97]
	v_mul_f64 v[160:161], v[162:163], s[34:35]
	v_add_f64 v[98:99], v[98:99], v[106:107]
	v_mul_f64 v[106:107], v[110:111], s[26:27]
	v_add_f64 v[96:97], v[96:97], v[104:105]
	v_fma_f64 v[116:117], v[92:93], s[30:31], v[106:107]
	v_fma_f64 v[104:105], v[92:93], s[36:37], v[106:107]
	v_mul_f64 v[106:107], v[94:95], s[18:19]
	v_add_f64 v[116:117], v[116:117], v[124:125]
	v_add_f64 v[104:105], v[104:105], v[112:113]
	v_fma_f64 v[112:113], v[108:109], s[16:17], v[106:107]
	v_fma_f64 v[106:107], v[108:109], s[16:17], -v[106:107]
	v_mul_f64 v[124:125], v[110:111], s[12:13]
	v_add_f64 v[112:113], v[112:113], v[120:121]
	v_fma_f64 v[120:121], v[92:93], s[28:29], v[118:119]
	v_add_f64 v[106:107], v[106:107], v[114:115]
	v_fma_f64 v[114:115], v[92:93], s[18:19], v[118:119]
	v_mul_f64 v[118:119], v[94:95], s[22:23]
	v_add_f64 v[120:121], v[120:121], v[128:129]
	v_fma_f64 v[128:129], v[92:93], s[38:39], v[124:125]
	v_add_f64 v[114:115], v[114:115], v[122:123]
	v_fma_f64 v[122:123], v[108:109], s[12:13], v[118:119]
	v_fma_f64 v[118:119], v[108:109], s[12:13], -v[118:119]
	v_fma_f64 v[124:125], v[92:93], s[22:23], v[124:125]
	v_add_f64 v[128:129], v[128:129], v[138:139]
	v_add_f64 v[122:123], v[122:123], v[130:131]
	;; [unrolled: 1-line block ×3, first 2 shown]
	v_mul_f64 v[126:127], v[94:95], s[46:47]
	v_add_f64 v[124:125], v[124:125], v[132:133]
	v_mul_f64 v[132:133], v[110:111], s[34:35]
	v_fma_f64 v[130:131], v[108:109], s[34:35], v[126:127]
	v_fma_f64 v[126:127], v[108:109], s[34:35], -v[126:127]
	v_fma_f64 v[138:139], v[92:93], s[40:41], v[132:133]
	v_fma_f64 v[132:133], v[92:93], s[46:47], v[132:133]
	v_add_f64 v[130:131], v[130:131], v[140:141]
	v_add_f64 v[126:127], v[126:127], v[134:135]
	v_mul_f64 v[134:135], v[94:95], s[6:7]
	v_add_f64 v[132:133], v[132:133], v[142:143]
	v_mul_f64 v[142:143], v[110:111], s[4:5]
	v_mul_f64 v[110:111], v[110:111], s[20:21]
	v_add_f64 v[138:139], v[138:139], v[144:145]
	v_mul_f64 v[94:95], v[94:95], s[24:25]
	v_fma_f64 v[140:141], v[108:109], s[4:5], v[134:135]
	v_fma_f64 v[134:135], v[108:109], s[4:5], -v[134:135]
	v_fma_f64 v[144:145], v[92:93], s[44:45], v[142:143]
	v_fma_f64 v[142:143], v[92:93], s[6:7], v[142:143]
	v_add_f64 v[140:141], v[140:141], v[148:149]
	v_fma_f64 v[148:149], v[92:93], s[42:43], v[110:111]
	v_fma_f64 v[92:93], v[92:93], s[24:25], v[110:111]
	v_add_f64 v[110:111], v[82:83], v[90:91]
	v_add_f64 v[82:83], v[82:83], -v[90:91]
	v_add_f64 v[134:135], v[134:135], v[146:147]
	v_fma_f64 v[146:147], v[108:109], s[20:21], v[94:95]
	v_fma_f64 v[94:95], v[108:109], s[20:21], -v[94:95]
	v_add_f64 v[108:109], v[80:81], v[88:89]
	v_add_f64 v[80:81], v[80:81], -v[88:89]
	v_add_f64 v[100:101], v[92:93], v[100:101]
	v_add_f64 v[142:143], v[142:143], v[150:151]
	v_mul_f64 v[88:89], v[82:83], s[40:41]
	v_add_f64 v[148:149], v[148:149], v[156:157]
	v_add_f64 v[146:147], v[146:147], v[154:155]
	;; [unrolled: 1-line block ×4, first 2 shown]
	v_add_f64 v[154:155], v[44:45], -v[68:69]
	v_add_f64 v[156:157], v[58:59], -v[66:67]
	v_add_f64 v[152:153], v[58:59], v[66:67]
	v_fma_f64 v[90:91], v[108:109], s[34:35], v[88:89]
	v_fma_f64 v[88:89], v[108:109], s[34:35], -v[88:89]
	v_mul_f64 v[150:151], v[152:153], s[26:27]
	v_add_f64 v[92:93], v[90:91], v[98:99]
	v_add_f64 v[88:89], v[88:89], v[96:97]
	v_mul_f64 v[96:97], v[82:83], s[6:7]
	v_mul_f64 v[90:91], v[110:111], s[34:35]
	v_fma_f64 v[98:99], v[108:109], s[4:5], v[96:97]
	v_fma_f64 v[94:95], v[80:81], s[46:47], v[90:91]
	;; [unrolled: 1-line block ×3, first 2 shown]
	v_fma_f64 v[96:97], v[108:109], s[4:5], -v[96:97]
	v_add_f64 v[179:180], v[98:99], v[112:113]
	v_mul_f64 v[98:99], v[110:111], s[4:5]
	v_add_f64 v[90:91], v[90:91], v[104:105]
	v_add_f64 v[96:97], v[96:97], v[106:107]
	;; [unrolled: 1-line block ×4, first 2 shown]
	v_fma_f64 v[104:105], v[80:81], s[44:45], v[98:99]
	v_fma_f64 v[98:99], v[80:81], s[6:7], v[98:99]
	v_add_f64 v[181:182], v[104:105], v[120:121]
	v_mul_f64 v[104:105], v[82:83], s[36:37]
	v_add_f64 v[120:121], v[46:47], -v[70:71]
	v_add_f64 v[98:99], v[98:99], v[114:115]
	v_mul_f64 v[114:115], v[116:117], s[12:13]
	v_fma_f64 v[106:107], v[108:109], s[26:27], v[104:105]
	v_fma_f64 v[104:105], v[108:109], s[26:27], -v[104:105]
	v_add_f64 v[183:184], v[106:107], v[122:123]
	v_mul_f64 v[106:107], v[110:111], s[26:27]
	v_add_f64 v[187:188], v[104:105], v[118:119]
	v_add_f64 v[118:119], v[36:37], -v[32:33]
	v_fma_f64 v[104:105], v[80:81], s[36:37], v[106:107]
	v_fma_f64 v[112:113], v[80:81], s[30:31], v[106:107]
	v_add_f64 v[189:190], v[104:105], v[124:125]
	v_mul_f64 v[104:105], v[82:83], s[38:39]
	v_add_f64 v[185:186], v[112:113], v[128:129]
	v_add_f64 v[128:129], v[50:51], v[78:79]
	v_fma_f64 v[106:107], v[108:109], s[12:13], v[104:105]
	v_fma_f64 v[104:105], v[108:109], s[12:13], -v[104:105]
	v_add_f64 v[191:192], v[106:107], v[130:131]
	v_mul_f64 v[106:107], v[110:111], s[12:13]
	v_add_f64 v[195:196], v[104:105], v[126:127]
	v_add_f64 v[130:131], v[50:51], -v[78:79]
	v_mul_f64 v[126:127], v[128:129], s[16:17]
	v_fma_f64 v[104:105], v[80:81], s[38:39], v[106:107]
	v_fma_f64 v[112:113], v[80:81], s[22:23], v[106:107]
	v_mul_f64 v[122:123], v[130:131], s[28:29]
	v_add_f64 v[197:198], v[104:105], v[132:133]
	v_mul_f64 v[104:105], v[82:83], s[24:25]
	v_mul_f64 v[82:83], v[82:83], s[18:19]
	v_add_f64 v[193:194], v[112:113], v[138:139]
	v_add_f64 v[138:139], v[38:39], -v[34:35]
	v_fma_f64 v[106:107], v[108:109], s[20:21], v[104:105]
	v_fma_f64 v[104:105], v[108:109], s[20:21], -v[104:105]
	v_add_f64 v[199:200], v[106:107], v[140:141]
	v_mul_f64 v[106:107], v[110:111], s[20:21]
	v_add_f64 v[208:209], v[104:105], v[134:135]
	v_fma_f64 v[104:105], v[80:81], s[24:25], v[106:107]
	v_fma_f64 v[112:113], v[80:81], s[42:43], v[106:107]
	v_add_f64 v[210:211], v[104:105], v[142:143]
	v_fma_f64 v[104:105], v[108:109], s[16:17], v[82:83]
	v_fma_f64 v[82:83], v[108:109], s[16:17], -v[82:83]
	v_add_f64 v[108:109], v[38:39], v[34:35]
	v_add_f64 v[201:202], v[112:113], v[144:145]
	;; [unrolled: 1-line block ×4, first 2 shown]
	v_mul_f64 v[104:105], v[110:111], s[16:17]
	v_add_f64 v[216:217], v[82:83], v[102:103]
	v_mul_f64 v[102:103], v[138:139], s[44:45]
	v_mul_f64 v[110:111], v[120:121], s[22:23]
	v_add_f64 v[146:147], v[54:55], -v[74:75]
	v_mul_f64 v[140:141], v[142:143], s[20:21]
	v_fma_f64 v[106:107], v[80:81], s[28:29], v[104:105]
	v_fma_f64 v[80:81], v[80:81], s[18:19], v[104:105]
	v_add_f64 v[104:105], v[44:45], v[68:69]
	v_mul_f64 v[132:133], v[146:147], s[24:25]
	v_add_f64 v[214:215], v[106:107], v[148:149]
	v_add_f64 v[218:219], v[80:81], v[100:101]
	;; [unrolled: 1-line block ×3, first 2 shown]
	v_mul_f64 v[106:107], v[108:109], s[4:5]
	v_fma_f64 v[112:113], v[104:105], s[12:13], -v[110:111]
	v_mul_f64 v[148:149], v[156:157], s[36:37]
	ds_write_b128 v174, v[84:87]
	ds_write_b128 v174, v[92:95] offset:16
	ds_write_b128 v174, v[179:182] offset:32
	;; [unrolled: 1-line block ×12, first 2 shown]
	v_fma_f64 v[80:81], v[100:101], s[4:5], -v[102:103]
	v_fma_f64 v[82:83], v[118:119], s[44:45], v[106:107]
	v_add_f64 v[80:81], v[40:41], v[80:81]
	v_add_f64 v[82:83], v[42:43], v[82:83]
	v_add_f64 v[80:81], v[112:113], v[80:81]
	v_fma_f64 v[112:113], v[154:155], s[22:23], v[114:115]
	v_add_f64 v[82:83], v[112:113], v[82:83]
	v_add_f64 v[112:113], v[48:49], v[76:77]
	v_fma_f64 v[124:125], v[112:113], s[16:17], -v[122:123]
	v_add_f64 v[80:81], v[124:125], v[80:81]
	v_fma_f64 v[124:125], v[164:165], s[28:29], v[126:127]
	v_add_f64 v[82:83], v[124:125], v[82:83]
	v_add_f64 v[124:125], v[52:53], v[72:73]
	v_fma_f64 v[134:135], v[124:125], s[20:21], -v[132:133]
	v_add_f64 v[80:81], v[134:135], v[80:81]
	;; [unrolled: 5-line block ×4, first 2 shown]
	v_fma_f64 v[220:221], v[172:173], s[40:41], v[160:161]
	v_add_f64 v[82:83], v[220:221], v[82:83]
	s_and_saveexec_b64 s[48:49], s[0:1]
	s_cbranch_execz .LBB0_17
; %bb.16:
	v_mul_f64 v[0:1], v[112:113], s[16:17]
	v_mul_f64 v[84:85], v[118:119], s[40:41]
	;; [unrolled: 1-line block ×8, first 2 shown]
	buffer_store_dword v0, off, s[56:59], 0 offset:1024 ; 4-byte Folded Spill
	s_nop 0
	buffer_store_dword v1, off, s[56:59], 0 offset:1028 ; 4-byte Folded Spill
	v_mul_f64 v[0:1], v[164:165], s[28:29]
	v_fma_f64 v[181:182], v[108:109], s[34:35], v[84:85]
	v_fma_f64 v[191:192], v[100:101], s[34:35], -v[90:91]
	v_fma_f64 v[84:85], v[108:109], s[34:35], -v[84:85]
	v_fma_f64 v[90:91], v[100:101], s[34:35], v[90:91]
	v_fma_f64 v[199:200], v[104:105], s[4:5], -v[189:190]
	v_fma_f64 v[195:196], v[128:129], s[26:27], v[183:184]
	v_fma_f64 v[189:190], v[104:105], s[4:5], v[189:190]
	buffer_store_dword v0, off, s[56:59], 0 offset:1032 ; 4-byte Folded Spill
	s_nop 0
	buffer_store_dword v1, off, s[56:59], 0 offset:1036 ; 4-byte Folded Spill
	v_mul_f64 v[0:1], v[124:125], s[20:21]
	v_add_f64 v[181:182], v[42:43], v[181:182]
	v_add_f64 v[191:192], v[40:41], v[191:192]
	v_add_f64 v[84:85], v[42:43], v[84:85]
	v_add_f64 v[90:91], v[40:41], v[90:91]
	v_fma_f64 v[201:202], v[112:113], s[26:27], -v[197:198]
	v_fma_f64 v[183:184], v[128:129], s[26:27], -v[183:184]
	v_fma_f64 v[187:188], v[142:143], s[12:13], v[88:89]
	buffer_store_dword v0, off, s[56:59], 0 offset:1000 ; 4-byte Folded Spill
	s_nop 0
	buffer_store_dword v1, off, s[56:59], 0 offset:1004 ; 4-byte Folded Spill
	v_mul_f64 v[0:1], v[168:169], s[24:25]
	v_add_f64 v[191:192], v[199:200], v[191:192]
	v_fma_f64 v[88:89], v[142:143], s[12:13], -v[88:89]
	v_add_f64 v[90:91], v[189:190], v[90:91]
	v_mul_f64 v[179:180], v[172:173], s[18:19]
	v_fma_f64 v[185:186], v[152:153], s[20:21], v[86:87]
	v_fma_f64 v[86:87], v[152:153], s[20:21], -v[86:87]
	v_mul_f64 v[210:211], v[130:131], s[22:23]
	buffer_store_dword v0, off, s[56:59], 0 offset:1008 ; 4-byte Folded Spill
	s_nop 0
	buffer_store_dword v1, off, s[56:59], 0 offset:1012 ; 4-byte Folded Spill
	v_mul_f64 v[0:1], v[134:135], s[26:27]
	v_add_f64 v[191:192], v[201:202], v[191:192]
	v_mul_f64 v[201:202], v[168:169], s[46:47]
	v_mul_f64 v[214:215], v[146:147], s[46:47]
	v_mov_b32_e32 v4, v252
	v_mov_b32_e32 v5, v253
	v_fma_f64 v[216:217], v[112:113], s[12:13], -v[210:211]
	v_mov_b32_e32 v6, v254
	buffer_store_dword v0, off, s[56:59], 0 offset:992 ; 4-byte Folded Spill
	s_nop 0
	buffer_store_dword v1, off, s[56:59], 0 offset:996 ; 4-byte Folded Spill
	v_mul_f64 v[0:1], v[170:171], s[36:37]
	v_mov_b32_e32 v7, v255
	v_mov_b32_e32 v255, v247
	;; [unrolled: 1-line block ×7, first 2 shown]
	buffer_store_dword v0, off, s[56:59], 0 offset:1040 ; 4-byte Folded Spill
	s_nop 0
	buffer_store_dword v1, off, s[56:59], 0 offset:1044 ; 4-byte Folded Spill
	v_mul_f64 v[0:1], v[144:145], s[34:35]
	v_mov_b32_e32 v245, v237
	v_mov_b32_e32 v244, v236
	;; [unrolled: 1-line block ×7, first 2 shown]
	buffer_store_dword v0, off, s[56:59], 0 offset:1016 ; 4-byte Folded Spill
	s_nop 0
	buffer_store_dword v1, off, s[56:59], 0 offset:1020 ; 4-byte Folded Spill
	buffer_store_dword v203, off, s[56:59], 0 offset:988 ; 4-byte Folded Spill
	v_mov_b32_e32 v203, v175
	v_mul_f64 v[174:175], v[154:155], s[6:7]
	v_mov_b32_e32 v236, v223
	v_mul_f64 v[222:223], v[146:147], s[28:29]
	v_mov_b32_e32 v0, v248
	v_mov_b32_e32 v1, v249
	v_mov_b32_e32 v2, v250
	v_mov_b32_e32 v3, v251
	v_mov_b32_e32 v251, v243
	v_fma_f64 v[193:194], v[116:117], s[4:5], v[174:175]
	v_fma_f64 v[174:175], v[116:117], s[4:5], -v[174:175]
	v_mov_b32_e32 v250, v242
	v_mov_b32_e32 v249, v241
	;; [unrolled: 1-line block ×6, first 2 shown]
	v_add_f64 v[181:182], v[193:194], v[181:182]
	v_mul_f64 v[193:194], v[146:147], s[38:39]
	v_add_f64 v[84:85], v[174:175], v[84:85]
	v_mov_b32_e32 v240, v227
	v_mul_f64 v[228:229], v[130:131], s[42:43]
	v_mov_b32_e32 v10, v234
	v_mov_b32_e32 v234, v231
	v_mul_f64 v[8:9], v[146:147], s[6:7]
	v_add_f64 v[174:175], v[195:196], v[181:182]
	v_mul_f64 v[181:182], v[156:157], s[24:25]
	v_fma_f64 v[195:196], v[112:113], s[26:27], v[197:198]
	v_fma_f64 v[189:190], v[124:125], s[12:13], -v[193:194]
	v_add_f64 v[84:85], v[183:184], v[84:85]
	v_mul_f64 v[183:184], v[166:167], s[18:19]
	v_add_f64 v[38:39], v[42:43], v[38:39]
	v_mul_f64 v[92:93], v[118:119], s[44:45]
	v_add_f64 v[174:175], v[187:188], v[174:175]
	v_fma_f64 v[187:188], v[124:125], s[12:13], v[193:194]
	v_add_f64 v[90:91], v[195:196], v[90:91]
	v_fma_f64 v[193:194], v[134:135], s[20:21], -v[181:182]
	v_add_f64 v[189:190], v[189:190], v[191:192]
	v_add_f64 v[84:85], v[88:89], v[84:85]
	v_fma_f64 v[88:89], v[162:163], s[16:17], v[179:180]
	v_fma_f64 v[181:182], v[134:135], s[20:21], v[181:182]
	v_add_f64 v[185:186], v[185:186], v[174:175]
	v_fma_f64 v[179:180], v[162:163], s[16:17], -v[179:180]
	v_add_f64 v[90:91], v[187:188], v[90:91]
	v_fma_f64 v[187:188], v[144:145], s[16:17], -v[183:184]
	v_add_f64 v[189:190], v[193:194], v[189:190]
	v_add_f64 v[191:192], v[86:87], v[84:85]
	v_mul_f64 v[193:194], v[118:119], s[36:37]
	v_fma_f64 v[183:184], v[144:145], s[16:17], v[183:184]
	v_add_f64 v[86:87], v[88:89], v[185:186]
	v_mul_f64 v[185:186], v[154:155], s[18:19]
	v_add_f64 v[181:182], v[181:182], v[90:91]
	v_mul_f64 v[195:196], v[120:121], s[18:19]
	v_add_f64 v[84:85], v[187:188], v[189:190]
	v_add_f64 v[90:91], v[179:180], v[191:192]
	v_mul_f64 v[179:180], v[138:139], s[36:37]
	v_fma_f64 v[187:188], v[108:109], s[26:27], v[193:194]
	v_fma_f64 v[193:194], v[108:109], s[26:27], -v[193:194]
	v_fma_f64 v[191:192], v[116:117], s[16:17], v[185:186]
	v_add_f64 v[88:89], v[183:184], v[181:182]
	v_mul_f64 v[183:184], v[164:165], s[22:23]
	v_fma_f64 v[212:213], v[104:105], s[16:17], -v[195:196]
	v_fma_f64 v[185:186], v[116:117], s[16:17], -v[185:186]
	v_fma_f64 v[197:198], v[100:101], s[26:27], -v[179:180]
	v_add_f64 v[187:188], v[42:43], v[187:188]
	v_fma_f64 v[179:180], v[100:101], s[26:27], v[179:180]
	v_fma_f64 v[195:196], v[104:105], s[16:17], v[195:196]
	v_mul_f64 v[189:190], v[170:171], s[6:7]
	v_fma_f64 v[208:209], v[128:129], s[12:13], v[183:184]
	v_fma_f64 v[183:184], v[128:129], s[12:13], -v[183:184]
	v_mul_f64 v[181:182], v[172:173], s[24:25]
	v_add_f64 v[197:198], v[40:41], v[197:198]
	v_add_f64 v[187:188], v[191:192], v[187:188]
	;; [unrolled: 1-line block ×3, first 2 shown]
	v_fma_f64 v[193:194], v[142:143], s[34:35], v[201:202]
	v_add_f64 v[179:180], v[40:41], v[179:180]
	v_fma_f64 v[199:200], v[152:153], s[4:5], v[189:190]
	v_fma_f64 v[189:190], v[152:153], s[4:5], -v[189:190]
	v_add_f64 v[38:39], v[38:39], v[46:47]
	v_add_f64 v[197:198], v[212:213], v[197:198]
	;; [unrolled: 1-line block ×4, first 2 shown]
	v_mul_f64 v[191:192], v[156:157], s[6:7]
	v_fma_f64 v[208:209], v[124:125], s[34:35], -v[214:215]
	v_add_f64 v[179:180], v[195:196], v[179:180]
	v_mul_f64 v[212:213], v[168:169], s[28:29]
	v_add_f64 v[38:39], v[38:39], v[50:51]
	v_add_f64 v[197:198], v[216:217], v[197:198]
	;; [unrolled: 1-line block ×3, first 2 shown]
	v_fma_f64 v[193:194], v[142:143], s[34:35], -v[201:202]
	v_add_f64 v[183:184], v[183:184], v[185:186]
	v_fma_f64 v[185:186], v[112:113], s[12:13], v[210:211]
	v_mul_f64 v[201:202], v[166:167], s[24:25]
	v_fma_f64 v[195:196], v[134:135], s[4:5], -v[191:192]
	v_mul_f64 v[216:217], v[130:131], s[6:7]
	v_add_f64 v[197:198], v[208:209], v[197:198]
	v_fma_f64 v[208:209], v[162:163], s[20:21], v[181:182]
	v_add_f64 v[187:188], v[199:200], v[187:188]
	v_add_f64 v[183:184], v[193:194], v[183:184]
	v_fma_f64 v[193:194], v[124:125], s[34:35], v[214:215]
	v_add_f64 v[179:180], v[185:186], v[179:180]
	v_fma_f64 v[185:186], v[144:145], s[20:21], -v[201:202]
	v_mul_f64 v[199:200], v[118:119], s[24:25]
	v_add_f64 v[195:196], v[195:196], v[197:198]
	v_fma_f64 v[197:198], v[162:163], s[20:21], -v[181:182]
	v_add_f64 v[181:182], v[208:209], v[187:188]
	v_add_f64 v[183:184], v[189:190], v[183:184]
	v_fma_f64 v[187:188], v[134:135], s[4:5], v[191:192]
	v_add_f64 v[189:190], v[193:194], v[179:180]
	v_mul_f64 v[193:194], v[138:139], s[24:25]
	v_mul_f64 v[191:192], v[154:155], s[30:31]
	v_add_f64 v[179:180], v[185:186], v[195:196]
	v_fma_f64 v[195:196], v[108:109], s[20:21], v[199:200]
	v_fma_f64 v[199:200], v[108:109], s[20:21], -v[199:200]
	v_add_f64 v[185:186], v[197:198], v[183:184]
	v_fma_f64 v[183:184], v[144:145], s[20:21], v[201:202]
	v_mul_f64 v[201:202], v[120:121], s[30:31]
	v_fma_f64 v[208:209], v[100:101], s[20:21], -v[193:194]
	v_mul_f64 v[197:198], v[164:165], s[6:7]
	v_add_f64 v[187:188], v[187:188], v[189:190]
	v_fma_f64 v[189:190], v[116:117], s[26:27], v[191:192]
	v_add_f64 v[195:196], v[42:43], v[195:196]
	v_fma_f64 v[191:192], v[116:117], s[26:27], -v[191:192]
	v_add_f64 v[199:200], v[42:43], v[199:200]
	v_fma_f64 v[218:219], v[104:105], s[26:27], -v[201:202]
	v_add_f64 v[208:209], v[40:41], v[208:209]
	v_fma_f64 v[214:215], v[128:129], s[4:5], v[197:198]
	v_fma_f64 v[224:225], v[112:113], s[4:5], -v[216:217]
	v_fma_f64 v[220:221], v[142:143], s[16:17], v[212:213]
	v_add_f64 v[189:190], v[189:190], v[195:196]
	v_mul_f64 v[195:196], v[170:171], s[46:47]
	v_fma_f64 v[197:198], v[128:129], s[4:5], -v[197:198]
	v_fma_f64 v[193:194], v[100:101], s[20:21], v[193:194]
	v_add_f64 v[208:209], v[218:219], v[208:209]
	v_add_f64 v[191:192], v[191:192], v[199:200]
	v_mul_f64 v[199:200], v[156:157], s[46:47]
	v_fma_f64 v[218:219], v[124:125], s[16:17], -v[222:223]
	v_add_f64 v[189:190], v[214:215], v[189:190]
	v_fma_f64 v[214:215], v[152:153], s[34:35], v[195:196]
	v_fma_f64 v[212:213], v[142:143], s[16:17], -v[212:213]
	v_fma_f64 v[201:202], v[104:105], s[26:27], v[201:202]
	v_add_f64 v[208:209], v[224:225], v[208:209]
	v_add_f64 v[193:194], v[40:41], v[193:194]
	;; [unrolled: 1-line block ×3, first 2 shown]
	v_mul_f64 v[197:198], v[166:167], s[38:39]
	v_add_f64 v[189:190], v[220:221], v[189:190]
	v_fma_f64 v[220:221], v[134:135], s[34:35], -v[199:200]
	v_mul_f64 v[210:211], v[172:173], s[38:39]
	v_fma_f64 v[195:196], v[152:153], s[34:35], -v[195:196]
	v_add_f64 v[208:209], v[218:219], v[208:209]
	v_fma_f64 v[216:217], v[112:113], s[4:5], v[216:217]
	v_add_f64 v[193:194], v[201:202], v[193:194]
	v_add_f64 v[191:192], v[212:213], v[191:192]
	;; [unrolled: 1-line block ×3, first 2 shown]
	v_fma_f64 v[201:202], v[144:145], s[12:13], -v[197:198]
	v_mul_f64 v[214:215], v[118:119], s[28:29]
	v_fma_f64 v[218:219], v[162:163], s[12:13], v[210:211]
	v_add_f64 v[208:209], v[220:221], v[208:209]
	v_fma_f64 v[210:211], v[162:163], s[12:13], -v[210:211]
	v_fma_f64 v[212:213], v[124:125], s[16:17], v[222:223]
	v_add_f64 v[193:194], v[216:217], v[193:194]
	v_add_f64 v[191:192], v[195:196], v[191:192]
	;; [unrolled: 1-line block ×3, first 2 shown]
	v_mul_f64 v[195:196], v[154:155], s[40:41]
	v_fma_f64 v[199:200], v[134:135], s[34:35], v[199:200]
	v_add_f64 v[187:188], v[201:202], v[208:209]
	v_fma_f64 v[201:202], v[108:109], s[16:17], v[214:215]
	v_mul_f64 v[216:217], v[138:139], s[28:29]
	v_add_f64 v[208:209], v[212:213], v[193:194]
	v_add_f64 v[193:194], v[210:211], v[191:192]
	v_mul_f64 v[191:192], v[164:165], s[42:43]
	v_fma_f64 v[212:213], v[116:117], s[34:35], v[195:196]
	v_fma_f64 v[214:215], v[108:109], s[16:17], -v[214:215]
	v_mul_f64 v[222:223], v[120:121], s[40:41]
	v_add_f64 v[201:202], v[42:43], v[201:202]
	v_fma_f64 v[224:225], v[100:101], s[16:17], -v[216:217]
	v_add_f64 v[199:200], v[199:200], v[208:209]
	v_mul_f64 v[208:209], v[168:169], s[6:7]
	v_fma_f64 v[220:221], v[128:129], s[20:21], v[191:192]
	v_fma_f64 v[195:196], v[116:117], s[34:35], -v[195:196]
	v_add_f64 v[214:215], v[42:43], v[214:215]
	v_fma_f64 v[230:231], v[104:105], s[34:35], -v[222:223]
	v_add_f64 v[201:202], v[212:213], v[201:202]
	v_mul_f64 v[212:213], v[170:171], s[22:23]
	v_add_f64 v[224:225], v[40:41], v[224:225]
	v_fma_f64 v[226:227], v[142:143], s[4:5], v[208:209]
	v_fma_f64 v[216:217], v[100:101], s[16:17], v[216:217]
	v_fma_f64 v[191:192], v[128:129], s[20:21], -v[191:192]
	v_add_f64 v[195:196], v[195:196], v[214:215]
	v_fma_f64 v[214:215], v[112:113], s[20:21], -v[228:229]
	v_add_f64 v[201:202], v[220:221], v[201:202]
	v_fma_f64 v[220:221], v[152:153], s[12:13], v[212:213]
	v_add_f64 v[224:225], v[230:231], v[224:225]
	v_fma_f64 v[222:223], v[104:105], s[34:35], v[222:223]
	v_add_f64 v[216:217], v[40:41], v[216:217]
	v_add_f64 v[38:39], v[38:39], v[54:55]
	;; [unrolled: 1-line block ×3, first 2 shown]
	v_fma_f64 v[195:196], v[124:125], s[4:5], -v[8:9]
	v_add_f64 v[201:202], v[226:227], v[201:202]
	v_mul_f64 v[226:227], v[156:157], s[22:23]
	v_add_f64 v[214:215], v[214:215], v[224:225]
	v_mul_f64 v[210:211], v[172:173], s[36:37]
	v_add_f64 v[216:217], v[222:223], v[216:217]
	v_add_f64 v[38:39], v[38:39], v[58:59]
	v_fma_f64 v[208:209], v[142:143], s[4:5], -v[208:209]
	v_add_f64 v[189:190], v[218:219], v[189:190]
	v_add_f64 v[201:202], v[220:221], v[201:202]
	v_fma_f64 v[220:221], v[112:113], s[20:21], v[228:229]
	v_fma_f64 v[224:225], v[134:135], s[12:13], -v[226:227]
	v_add_f64 v[195:196], v[195:196], v[214:215]
	v_fma_f64 v[197:198], v[144:145], s[12:13], v[197:198]
	v_add_f64 v[38:39], v[38:39], v[206:207]
	v_fma_f64 v[218:219], v[162:163], s[26:27], v[210:211]
	v_fma_f64 v[212:213], v[152:153], s[12:13], -v[212:213]
	v_add_f64 v[208:209], v[208:209], v[191:192]
	v_add_f64 v[214:215], v[220:221], v[216:217]
	v_fma_f64 v[216:217], v[134:135], s[12:13], v[226:227]
	v_mov_b32_e32 v227, v240
	v_mov_b32_e32 v228, v241
	;; [unrolled: 1-line block ×12, first 2 shown]
	buffer_load_dword v0, off, s[56:59], 0 offset:1032 ; 4-byte Folded Reload
	buffer_load_dword v1, off, s[56:59], 0 offset:1036 ; 4-byte Folded Reload
	v_add_f64 v[38:39], v[38:39], v[62:63]
	v_add_f64 v[191:192], v[197:198], v[199:200]
	;; [unrolled: 1-line block ×3, first 2 shown]
	v_fma_f64 v[201:202], v[162:163], s[26:27], -v[210:211]
	v_add_f64 v[208:209], v[212:213], v[208:209]
	v_mul_f64 v[212:213], v[118:119], s[22:23]
	v_mul_f64 v[94:95], v[154:155], s[22:23]
	v_add_f64 v[92:93], v[106:107], -v[92:93]
	v_add_f64 v[36:37], v[40:41], v[36:37]
	v_mul_f64 v[96:97], v[100:101], s[4:5]
	v_mul_f64 v[222:223], v[166:167], s[36:37]
	v_mul_f64 v[138:139], v[138:139], s[22:23]
	v_add_f64 v[118:119], v[201:202], v[208:209]
	v_fma_f64 v[208:209], v[108:109], s[12:13], v[212:213]
	v_fma_f64 v[108:109], v[108:109], s[12:13], -v[212:213]
	v_add_f64 v[94:95], v[114:115], -v[94:95]
	v_add_f64 v[36:37], v[36:37], v[44:45]
	v_mul_f64 v[120:121], v[120:121], s[24:25]
	v_fma_f64 v[210:211], v[144:145], s[26:27], -v[222:223]
	v_fma_f64 v[201:202], v[144:145], s[26:27], v[222:223]
	v_fma_f64 v[222:223], v[100:101], s[12:13], -v[138:139]
	v_add_f64 v[208:209], v[42:43], v[208:209]
	v_add_f64 v[108:109], v[42:43], v[108:109]
	;; [unrolled: 1-line block ×5, first 2 shown]
	v_fma_f64 v[100:101], v[100:101], s[12:13], v[138:139]
	v_mul_f64 v[44:45], v[130:131], s[40:41]
	v_add_f64 v[130:131], v[40:41], v[222:223]
	v_fma_f64 v[102:103], v[104:105], s[20:21], v[120:121]
	v_mul_f64 v[98:99], v[104:105], s[12:13]
	v_add_f64 v[42:43], v[94:95], v[42:43]
	v_add_f64 v[36:37], v[36:37], v[52:53]
	v_mul_f64 v[52:53], v[156:157], s[18:19]
	v_mul_f64 v[48:49], v[146:147], s[30:31]
	v_fma_f64 v[50:51], v[112:113], s[34:35], -v[44:45]
	v_fma_f64 v[44:45], v[112:113], s[34:35], v[44:45]
	v_mul_f64 v[174:175], v[172:173], s[40:41]
	v_add_f64 v[92:93], v[98:99], v[110:111]
	v_add_f64 v[38:39], v[38:39], v[66:67]
	;; [unrolled: 1-line block ×3, first 2 shown]
	v_fma_f64 v[58:59], v[134:135], s[16:17], -v[52:53]
	v_fma_f64 v[54:55], v[124:125], s[26:27], -v[48:49]
	v_fma_f64 v[48:49], v[124:125], s[26:27], v[48:49]
	v_mul_f64 v[154:155], v[154:155], s[24:25]
	v_mul_f64 v[164:165], v[164:165], s[40:41]
	v_fma_f64 v[199:200], v[124:125], s[4:5], v[8:9]
	v_mul_f64 v[168:169], v[168:169], s[30:31]
	v_add_f64 v[36:37], v[36:37], v[204:205]
	v_fma_f64 v[46:47], v[104:105], s[20:21], -v[120:121]
	v_mul_f64 v[170:171], v[170:171], s[18:19]
	v_add_f64 v[38:39], v[38:39], v[74:75]
	v_fma_f64 v[218:219], v[116:117], s[20:21], v[154:155]
	v_fma_f64 v[212:213], v[128:129], s[34:35], v[164:165]
	v_fma_f64 v[116:117], v[116:117], s[20:21], -v[154:155]
	v_add_f64 v[199:200], v[199:200], v[214:215]
	v_add_f64 v[36:37], v[36:37], v[60:61]
	;; [unrolled: 1-line block ×4, first 2 shown]
	v_fma_f64 v[220:221], v[142:143], s[26:27], v[168:169]
	v_add_f64 v[208:209], v[218:219], v[208:209]
	v_fma_f64 v[128:129], v[128:129], s[34:35], -v[164:165]
	v_add_f64 v[108:109], v[116:117], v[108:109]
	v_add_f64 v[46:47], v[46:47], v[130:131]
	;; [unrolled: 1-line block ×7, first 2 shown]
	v_fma_f64 v[216:217], v[152:153], s[16:17], v[170:171]
	v_fma_f64 v[130:131], v[142:143], s[26:27], -v[168:169]
	v_add_f64 v[108:109], v[128:129], v[108:109]
	v_add_f64 v[36:37], v[36:37], v[72:73]
	;; [unrolled: 1-line block ×4, first 2 shown]
	v_fma_f64 v[44:45], v[134:135], s[16:17], v[52:53]
	v_add_f64 v[116:117], v[220:221], v[154:155]
	v_add_f64 v[38:39], v[38:39], v[78:79]
	v_mul_f64 v[172:173], v[172:173], s[6:7]
	s_waitcnt vmcnt(0)
	v_add_f64 v[62:63], v[126:127], -v[0:1]
	buffer_load_dword v0, off, s[56:59], 0 offset:1024 ; 4-byte Folded Reload
	buffer_load_dword v1, off, s[56:59], 0 offset:1028 ; 4-byte Folded Reload
	v_add_f64 v[36:37], v[36:37], v[76:77]
	v_add_f64 v[40:41], v[48:49], v[40:41]
	;; [unrolled: 1-line block ×4, first 2 shown]
	v_fma_f64 v[116:117], v[152:153], s[16:17], -v[170:171]
	v_mul_f64 v[56:57], v[166:167], s[6:7]
	v_add_f64 v[42:43], v[62:63], v[42:43]
	v_add_f64 v[46:47], v[54:55], v[46:47]
	;; [unrolled: 1-line block ×4, first 2 shown]
	v_fma_f64 v[54:55], v[162:163], s[4:5], -v[172:173]
	v_add_f64 v[195:196], v[224:225], v[195:196]
	v_add_f64 v[106:107], v[116:117], v[108:109]
	v_fma_f64 v[48:49], v[144:145], s[4:5], v[56:57]
	v_fma_f64 v[214:215], v[162:163], s[4:5], v[172:173]
	v_fma_f64 v[56:57], v[144:145], s[4:5], -v[56:57]
	v_add_f64 v[46:47], v[58:59], v[46:47]
	v_mov_b32_e32 v223, v236
	v_add_f64 v[116:117], v[201:202], v[199:200]
	v_mov_b32_e32 v224, v237
	;; [unrolled: 2-line block ×3, first 2 shown]
	v_mov_b32_e32 v226, v239
	v_mov_b32_e32 v236, v244
	;; [unrolled: 1-line block ×17, first 2 shown]
	v_add_f64 v[195:196], v[210:211], v[195:196]
	v_add_f64 v[46:47], v[56:57], v[46:47]
	s_waitcnt vmcnt(0)
	v_add_f64 v[94:95], v[0:1], v[122:123]
	buffer_load_dword v0, off, s[56:59], 0 offset:1008 ; 4-byte Folded Reload
	buffer_load_dword v1, off, s[56:59], 0 offset:1012 ; 4-byte Folded Reload
	v_add_f64 v[60:61], v[94:95], v[60:61]
	s_waitcnt vmcnt(0)
	v_add_f64 v[64:65], v[140:141], -v[0:1]
	buffer_load_dword v0, off, s[56:59], 0 offset:1000 ; 4-byte Folded Reload
	buffer_load_dword v1, off, s[56:59], 0 offset:1004 ; 4-byte Folded Reload
	v_add_f64 v[42:43], v[64:65], v[42:43]
	s_waitcnt vmcnt(0)
	v_add_f64 v[62:63], v[0:1], v[132:133]
	buffer_load_dword v0, off, s[56:59], 0 offset:1040 ; 4-byte Folded Reload
	buffer_load_dword v1, off, s[56:59], 0 offset:1044 ; 4-byte Folded Reload
	v_add_f64 v[60:61], v[62:63], v[60:61]
	v_add_f64 v[62:63], v[160:161], -v[174:175]
	s_waitcnt vmcnt(0)
	v_add_f64 v[52:53], v[150:151], -v[0:1]
	buffer_load_dword v0, off, s[56:59], 0 offset:992 ; 4-byte Folded Reload
	buffer_load_dword v1, off, s[56:59], 0 offset:996 ; 4-byte Folded Reload
	v_add_f64 v[42:43], v[52:53], v[42:43]
	s_waitcnt vmcnt(0)
	v_add_f64 v[64:65], v[0:1], v[148:149]
	buffer_load_dword v0, off, s[56:59], 0 offset:1016 ; 4-byte Folded Reload
	buffer_load_dword v1, off, s[56:59], 0 offset:1020 ; 4-byte Folded Reload
	v_add_f64 v[60:61], v[64:65], v[60:61]
	v_add_f64 v[64:65], v[44:45], v[40:41]
	;; [unrolled: 1-line block ×4, first 2 shown]
	v_lshl_add_u32 v32, v203, 4, v177
	buffer_load_dword v203, off, s[56:59], 0 offset:988 ; 4-byte Folded Reload
	v_add_f64 v[44:45], v[38:39], v[34:35]
	v_add_f64 v[34:35], v[48:49], v[64:65]
	;; [unrolled: 1-line block ×3, first 2 shown]
	s_waitcnt vmcnt(1)
	v_add_f64 v[52:53], v[0:1], v[158:159]
	v_add_f64 v[38:39], v[52:53], v[60:61]
	ds_write_b128 v32, v[42:45]
	ds_write_b128 v32, v[38:41] offset:16
	ds_write_b128 v32, v[34:37] offset:32
	ds_write_b128 v32, v[116:119] offset:48
	ds_write_b128 v32, v[191:194] offset:64
	ds_write_b128 v32, v[183:186] offset:80
	ds_write_b128 v32, v[88:91] offset:96
	ds_write_b128 v32, v[84:87] offset:112
	ds_write_b128 v32, v[179:182] offset:128
	ds_write_b128 v32, v[187:190] offset:144
	ds_write_b128 v32, v[195:198] offset:160
	ds_write_b128 v32, v[46:49] offset:176
	ds_write_b128 v32, v[80:83] offset:192
.LBB0_17:
	s_or_b64 exec, exec, s[48:49]
	s_waitcnt vmcnt(0) lgkmcnt(0)
	s_barrier
	ds_read_b128 v[54:57], v176
	ds_read_b128 v[42:45], v176 offset:3120
	ds_read_b128 v[46:49], v176 offset:6240
	;; [unrolled: 1-line block ×24, first 2 shown]
	buffer_load_dword v0, off, s[56:59], 0 offset:160 ; 4-byte Folded Reload
	buffer_load_dword v1, off, s[56:59], 0 offset:164 ; 4-byte Folded Reload
	;; [unrolled: 1-line block ×4, first 2 shown]
	s_mov_b32 s12, 0x134454ff
	s_mov_b32 s13, 0xbfee6f0e
	;; [unrolled: 1-line block ×10, first 2 shown]
	s_waitcnt vmcnt(0) lgkmcnt(14)
	v_mul_f64 v[32:33], v[2:3], v[44:45]
	v_fma_f64 v[70:71], v[0:1], v[42:43], v[32:33]
	v_mul_f64 v[32:33], v[2:3], v[42:43]
	v_fma_f64 v[74:75], v[0:1], v[44:45], -v[32:33]
	buffer_load_dword v0, off, s[56:59], 0 offset:144 ; 4-byte Folded Reload
	buffer_load_dword v1, off, s[56:59], 0 offset:148 ; 4-byte Folded Reload
	;; [unrolled: 1-line block ×4, first 2 shown]
	s_waitcnt vmcnt(0)
	v_mul_f64 v[32:33], v[2:3], v[48:49]
	v_fma_f64 v[84:85], v[0:1], v[46:47], v[32:33]
	v_mul_f64 v[32:33], v[2:3], v[46:47]
	v_fma_f64 v[170:171], v[0:1], v[48:49], -v[32:33]
	buffer_load_dword v0, off, s[56:59], 0 offset:128 ; 4-byte Folded Reload
	buffer_load_dword v1, off, s[56:59], 0 offset:132 ; 4-byte Folded Reload
	;; [unrolled: 1-line block ×4, first 2 shown]
	s_waitcnt vmcnt(0)
	v_mul_f64 v[32:33], v[2:3], v[52:53]
	v_fma_f64 v[48:49], v[0:1], v[50:51], v[32:33]
	v_mul_f64 v[32:33], v[2:3], v[50:51]
	v_add_f64 v[50:51], v[70:71], -v[84:85]
	v_add_f64 v[44:45], v[84:85], v[48:49]
	v_fma_f64 v[172:173], v[0:1], v[52:53], -v[32:33]
	buffer_load_dword v0, off, s[56:59], 0 offset:112 ; 4-byte Folded Reload
	buffer_load_dword v1, off, s[56:59], 0 offset:116 ; 4-byte Folded Reload
	;; [unrolled: 1-line block ×4, first 2 shown]
	v_fma_f64 v[44:45], v[44:45], -0.5, v[54:55]
	s_waitcnt vmcnt(0)
	v_mul_f64 v[32:33], v[2:3], v[60:61]
	v_fma_f64 v[52:53], v[0:1], v[58:59], v[32:33]
	v_mul_f64 v[32:33], v[2:3], v[58:59]
	v_add_f64 v[58:59], v[52:53], -v[48:49]
	v_fma_f64 v[60:61], v[0:1], v[60:61], -v[32:33]
	buffer_load_dword v0, off, s[56:59], 0 offset:224 ; 4-byte Folded Reload
	buffer_load_dword v1, off, s[56:59], 0 offset:228 ; 4-byte Folded Reload
	;; [unrolled: 1-line block ×4, first 2 shown]
	v_add_f64 v[58:59], v[50:51], v[58:59]
	s_waitcnt vmcnt(0)
	v_mul_f64 v[32:33], v[2:3], v[68:69]
	v_fma_f64 v[72:73], v[0:1], v[66:67], v[32:33]
	v_mul_f64 v[32:33], v[2:3], v[66:67]
	v_add_f64 v[66:67], v[74:75], -v[60:61]
	v_fma_f64 v[86:87], v[0:1], v[68:69], -v[32:33]
	buffer_load_dword v0, off, s[56:59], 0 offset:208 ; 4-byte Folded Reload
	buffer_load_dword v1, off, s[56:59], 0 offset:212 ; 4-byte Folded Reload
	;; [unrolled: 1-line block ×4, first 2 shown]
	v_fma_f64 v[46:47], v[66:67], s[12:13], v[44:45]
	v_add_f64 v[68:69], v[170:171], -v[172:173]
	v_fma_f64 v[44:45], v[66:67], s[16:17], v[44:45]
	v_fma_f64 v[46:47], v[68:69], s[6:7], v[46:47]
	v_fma_f64 v[44:45], v[68:69], s[18:19], v[44:45]
	v_fma_f64 v[50:51], v[58:59], s[4:5], v[46:47]
	v_fma_f64 v[46:47], v[58:59], s[4:5], v[44:45]
	v_add_f64 v[44:45], v[70:71], v[52:53]
	v_add_f64 v[58:59], v[84:85], -v[70:71]
	v_fma_f64 v[44:45], v[44:45], -0.5, v[54:55]
	s_waitcnt vmcnt(0)
	v_mul_f64 v[32:33], v[2:3], v[90:91]
	v_fma_f64 v[96:97], v[0:1], v[88:89], v[32:33]
	v_mul_f64 v[32:33], v[2:3], v[88:89]
	v_add_f64 v[88:89], v[48:49], -v[52:53]
	v_fma_f64 v[90:91], v[0:1], v[90:91], -v[32:33]
	buffer_load_dword v0, off, s[56:59], 0 offset:192 ; 4-byte Folded Reload
	buffer_load_dword v1, off, s[56:59], 0 offset:196 ; 4-byte Folded Reload
	;; [unrolled: 1-line block ×4, first 2 shown]
	v_add_f64 v[88:89], v[58:59], v[88:89]
	s_waitcnt vmcnt(0)
	v_mul_f64 v[32:33], v[2:3], v[94:95]
	v_fma_f64 v[100:101], v[0:1], v[92:93], v[32:33]
	v_mul_f64 v[32:33], v[2:3], v[92:93]
	v_fma_f64 v[92:93], v[0:1], v[94:95], -v[32:33]
	buffer_load_dword v0, off, s[56:59], 0 offset:176 ; 4-byte Folded Reload
	buffer_load_dword v1, off, s[56:59], 0 offset:180 ; 4-byte Folded Reload
	buffer_load_dword v2, off, s[56:59], 0 offset:184 ; 4-byte Folded Reload
	buffer_load_dword v3, off, s[56:59], 0 offset:188 ; 4-byte Folded Reload
	s_waitcnt vmcnt(0)
	v_mul_f64 v[32:33], v[2:3], v[108:109]
	v_fma_f64 v[104:105], v[0:1], v[106:107], v[32:33]
	v_mul_f64 v[32:33], v[2:3], v[106:107]
	v_fma_f64 v[94:95], v[0:1], v[108:109], -v[32:33]
	buffer_load_dword v0, off, s[56:59], 0 offset:288 ; 4-byte Folded Reload
	buffer_load_dword v1, off, s[56:59], 0 offset:292 ; 4-byte Folded Reload
	buffer_load_dword v2, off, s[56:59], 0 offset:296 ; 4-byte Folded Reload
	buffer_load_dword v3, off, s[56:59], 0 offset:300 ; 4-byte Folded Reload
	s_waitcnt vmcnt(0) lgkmcnt(13)
	v_mul_f64 v[32:33], v[2:3], v[112:113]
	v_fma_f64 v[98:99], v[0:1], v[110:111], v[32:33]
	v_mul_f64 v[32:33], v[2:3], v[110:111]
	v_fma_f64 v[106:107], v[0:1], v[112:113], -v[32:33]
	buffer_load_dword v0, off, s[56:59], 0 offset:272 ; 4-byte Folded Reload
	buffer_load_dword v1, off, s[56:59], 0 offset:276 ; 4-byte Folded Reload
	buffer_load_dword v2, off, s[56:59], 0 offset:280 ; 4-byte Folded Reload
	buffer_load_dword v3, off, s[56:59], 0 offset:284 ; 4-byte Folded Reload
	s_waitcnt vmcnt(0) lgkmcnt(12)
	;; [unrolled: 9-line block ×8, first 2 shown]
	v_mul_f64 v[42:43], v[2:3], v[152:153]
	v_fma_f64 v[148:149], v[0:1], v[150:151], v[42:43]
	v_mul_f64 v[42:43], v[2:3], v[150:151]
	v_add_f64 v[150:151], v[90:91], -v[92:93]
	v_fma_f64 v[144:145], v[0:1], v[152:153], -v[42:43]
	buffer_load_dword v0, off, s[56:59], 0 offset:416 ; 4-byte Folded Reload
	buffer_load_dword v1, off, s[56:59], 0 offset:420 ; 4-byte Folded Reload
	;; [unrolled: 1-line block ×4, first 2 shown]
	v_add_f64 v[152:153], v[100:101], -v[104:105]
	s_waitcnt vmcnt(0) lgkmcnt(3)
	v_mul_f64 v[42:43], v[2:3], v[156:157]
	v_fma_f64 v[132:133], v[0:1], v[154:155], v[42:43]
	v_mul_f64 v[42:43], v[2:3], v[154:155]
	v_fma_f64 v[124:125], v[0:1], v[156:157], -v[42:43]
	buffer_load_dword v0, off, s[56:59], 0 offset:400 ; 4-byte Folded Reload
	buffer_load_dword v1, off, s[56:59], 0 offset:404 ; 4-byte Folded Reload
	buffer_load_dword v2, off, s[56:59], 0 offset:408 ; 4-byte Folded Reload
	buffer_load_dword v3, off, s[56:59], 0 offset:412 ; 4-byte Folded Reload
	s_waitcnt vmcnt(0) lgkmcnt(2)
	v_mul_f64 v[42:43], v[2:3], v[160:161]
	v_fma_f64 v[134:135], v[0:1], v[158:159], v[42:43]
	v_mul_f64 v[42:43], v[2:3], v[158:159]
	v_fma_f64 v[126:127], v[0:1], v[160:161], -v[42:43]
	buffer_load_dword v0, off, s[56:59], 0 offset:384 ; 4-byte Folded Reload
	buffer_load_dword v1, off, s[56:59], 0 offset:388 ; 4-byte Folded Reload
	buffer_load_dword v2, off, s[56:59], 0 offset:392 ; 4-byte Folded Reload
	buffer_load_dword v3, off, s[56:59], 0 offset:396 ; 4-byte Folded Reload
	;; [unrolled: 9-line block ×3, first 2 shown]
	s_waitcnt vmcnt(0) lgkmcnt(0)
	s_barrier
	v_mul_f64 v[42:43], v[2:3], v[168:169]
	v_fma_f64 v[140:141], v[0:1], v[166:167], v[42:43]
	v_mul_f64 v[42:43], v[2:3], v[166:167]
	v_fma_f64 v[130:131], v[0:1], v[168:169], -v[42:43]
	v_add_f64 v[42:43], v[54:55], v[70:71]
	v_fma_f64 v[54:55], v[68:69], s[16:17], v[44:45]
	v_fma_f64 v[44:45], v[68:69], s[12:13], v[44:45]
	v_add_f64 v[68:69], v[70:71], -v[52:53]
	v_add_f64 v[70:71], v[84:85], -v[48:49]
	v_add_f64 v[42:43], v[42:43], v[84:85]
	v_fma_f64 v[54:55], v[66:67], s[6:7], v[54:55]
	v_fma_f64 v[44:45], v[66:67], s[18:19], v[44:45]
	v_add_f64 v[66:67], v[170:171], v[172:173]
	v_add_f64 v[84:85], v[60:61], -v[172:173]
	v_add_f64 v[42:43], v[42:43], v[48:49]
	v_fma_f64 v[58:59], v[88:89], s[4:5], v[54:55]
	v_fma_f64 v[54:55], v[88:89], s[4:5], v[44:45]
	v_fma_f64 v[66:67], v[66:67], -0.5, v[56:57]
	v_add_f64 v[44:45], v[56:57], v[74:75]
	v_add_f64 v[88:89], v[104:105], -v[100:101]
	v_add_f64 v[42:43], v[42:43], v[52:53]
	v_fma_f64 v[52:53], v[68:69], s[16:17], v[66:67]
	v_add_f64 v[44:45], v[44:45], v[170:171]
	v_fma_f64 v[48:49], v[70:71], s[18:19], v[52:53]
	v_add_f64 v[52:53], v[74:75], -v[170:171]
	v_add_f64 v[44:45], v[44:45], v[172:173]
	v_add_f64 v[84:85], v[52:53], v[84:85]
	;; [unrolled: 1-line block ×3, first 2 shown]
	v_fma_f64 v[52:53], v[84:85], s[4:5], v[48:49]
	v_fma_f64 v[48:49], v[68:69], s[12:13], v[66:67]
	v_add_f64 v[66:67], v[74:75], v[60:61]
	v_add_f64 v[74:75], v[170:171], -v[74:75]
	v_add_f64 v[60:61], v[172:173], -v[60:61]
	v_fma_f64 v[48:49], v[70:71], s[6:7], v[48:49]
	v_fma_f64 v[56:57], v[66:67], -0.5, v[56:57]
	v_add_f64 v[74:75], v[74:75], v[60:61]
	v_fma_f64 v[48:49], v[84:85], s[4:5], v[48:49]
	v_fma_f64 v[66:67], v[70:71], s[12:13], v[56:57]
	;; [unrolled: 1-line block ×3, first 2 shown]
	v_add_f64 v[84:85], v[86:87], -v[94:95]
	v_fma_f64 v[66:67], v[68:69], s[18:19], v[66:67]
	v_fma_f64 v[56:57], v[68:69], s[6:7], v[56:57]
	v_add_f64 v[68:69], v[96:97], v[100:101]
	v_fma_f64 v[60:61], v[74:75], s[4:5], v[66:67]
	v_fma_f64 v[56:57], v[74:75], s[4:5], v[56:57]
	v_fma_f64 v[68:69], v[68:69], -0.5, v[76:77]
	v_add_f64 v[74:75], v[72:73], -v[96:97]
	v_add_f64 v[66:67], v[76:77], v[72:73]
	v_fma_f64 v[70:71], v[84:85], s[12:13], v[68:69]
	v_fma_f64 v[68:69], v[84:85], s[16:17], v[68:69]
	v_add_f64 v[88:89], v[74:75], v[88:89]
	v_add_f64 v[66:67], v[66:67], v[96:97]
	v_fma_f64 v[70:71], v[150:151], s[6:7], v[70:71]
	v_fma_f64 v[68:69], v[150:151], s[18:19], v[68:69]
	v_add_f64 v[66:67], v[66:67], v[100:101]
	v_fma_f64 v[74:75], v[88:89], s[4:5], v[70:71]
	v_fma_f64 v[70:71], v[88:89], s[4:5], v[68:69]
	v_add_f64 v[68:69], v[72:73], v[104:105]
	v_add_f64 v[88:89], v[96:97], -v[72:73]
	v_add_f64 v[66:67], v[66:67], v[104:105]
	v_add_f64 v[104:105], v[72:73], -v[104:105]
	v_add_f64 v[96:97], v[96:97], -v[100:101]
	;; [unrolled: 1-line block ×3, first 2 shown]
	v_fma_f64 v[68:69], v[68:69], -0.5, v[76:77]
	v_add_f64 v[152:153], v[88:89], v[152:153]
	v_fma_f64 v[76:77], v[150:151], s[16:17], v[68:69]
	v_fma_f64 v[68:69], v[150:151], s[12:13], v[68:69]
	;; [unrolled: 1-line block ×5, first 2 shown]
	v_add_f64 v[76:77], v[90:91], v[92:93]
	v_fma_f64 v[84:85], v[152:153], s[4:5], v[68:69]
	v_add_f64 v[68:69], v[78:79], v[86:87]
	v_add_f64 v[152:153], v[116:117], -v[120:121]
	v_fma_f64 v[150:151], v[76:77], -0.5, v[78:79]
	v_add_f64 v[76:77], v[86:87], -v[90:91]
	v_add_f64 v[68:69], v[68:69], v[90:91]
	v_fma_f64 v[72:73], v[104:105], s[16:17], v[150:151]
	v_add_f64 v[100:101], v[76:77], v[100:101]
	v_add_f64 v[68:69], v[68:69], v[92:93]
	v_fma_f64 v[72:73], v[96:97], s[18:19], v[72:73]
	v_add_f64 v[68:69], v[68:69], v[94:95]
	v_fma_f64 v[76:77], v[100:101], s[4:5], v[72:73]
	v_fma_f64 v[72:73], v[104:105], s[12:13], v[150:151]
	v_add_f64 v[150:151], v[108:109], -v[110:111]
	v_fma_f64 v[72:73], v[96:97], s[6:7], v[72:73]
	v_fma_f64 v[72:73], v[100:101], s[4:5], v[72:73]
	v_add_f64 v[100:101], v[86:87], v[94:95]
	v_add_f64 v[86:87], v[90:91], -v[86:87]
	v_add_f64 v[90:91], v[92:93], -v[94:95]
	;; [unrolled: 1-line block ×3, first 2 shown]
	v_fma_f64 v[78:79], v[100:101], -0.5, v[78:79]
	v_add_f64 v[86:87], v[86:87], v[90:91]
	v_fma_f64 v[100:101], v[96:97], s[12:13], v[78:79]
	v_fma_f64 v[78:79], v[96:97], s[16:17], v[78:79]
	;; [unrolled: 1-line block ×4, first 2 shown]
	v_add_f64 v[104:105], v[120:121], -v[116:117]
	v_fma_f64 v[90:91], v[86:87], s[4:5], v[100:101]
	v_fma_f64 v[86:87], v[86:87], s[4:5], v[78:79]
	v_add_f64 v[78:79], v[62:63], v[98:99]
	v_add_f64 v[100:101], v[98:99], -v[102:103]
	v_add_f64 v[78:79], v[78:79], v[102:103]
	v_add_f64 v[104:105], v[100:101], v[104:105]
	;; [unrolled: 1-line block ×5, first 2 shown]
	v_add_f64 v[116:117], v[102:103], -v[116:117]
	v_fma_f64 v[78:79], v[78:79], -0.5, v[62:63]
	v_fma_f64 v[96:97], v[94:95], s[12:13], v[78:79]
	v_fma_f64 v[78:79], v[94:95], s[16:17], v[78:79]
	;; [unrolled: 1-line block ×6, first 2 shown]
	v_add_f64 v[78:79], v[98:99], v[120:121]
	v_add_f64 v[104:105], v[102:103], -v[98:99]
	v_add_f64 v[120:121], v[98:99], -v[120:121]
	;; [unrolled: 1-line block ×3, first 2 shown]
	v_fma_f64 v[62:63], v[78:79], -0.5, v[62:63]
	v_add_f64 v[152:153], v[104:105], v[152:153]
	v_fma_f64 v[78:79], v[150:151], s[16:17], v[62:63]
	v_fma_f64 v[62:63], v[150:151], s[12:13], v[62:63]
	v_add_f64 v[150:151], v[112:113], -v[110:111]
	v_fma_f64 v[78:79], v[94:95], s[6:7], v[78:79]
	v_fma_f64 v[62:63], v[94:95], s[18:19], v[62:63]
	v_add_f64 v[150:151], v[102:103], v[150:151]
	v_fma_f64 v[104:105], v[152:153], s[4:5], v[78:79]
	v_add_f64 v[78:79], v[64:65], v[106:107]
	v_fma_f64 v[62:63], v[152:153], s[4:5], v[62:63]
	v_add_f64 v[152:153], v[146:147], -v[148:149]
	v_add_f64 v[78:79], v[78:79], v[108:109]
	v_add_f64 v[78:79], v[78:79], v[110:111]
	;; [unrolled: 1-line block ×4, first 2 shown]
	v_fma_f64 v[78:79], v[78:79], -0.5, v[64:65]
	v_fma_f64 v[98:99], v[120:121], s[16:17], v[78:79]
	v_fma_f64 v[78:79], v[120:121], s[12:13], v[78:79]
	;; [unrolled: 1-line block ×6, first 2 shown]
	v_add_f64 v[78:79], v[106:107], v[112:113]
	v_add_f64 v[106:107], v[108:109], -v[106:107]
	v_add_f64 v[108:109], v[110:111], -v[112:113]
	;; [unrolled: 1-line block ×4, first 2 shown]
	v_fma_f64 v[64:65], v[78:79], -0.5, v[64:65]
	v_add_f64 v[108:109], v[106:107], v[108:109]
	v_fma_f64 v[78:79], v[116:117], s[12:13], v[64:65]
	v_fma_f64 v[64:65], v[116:117], s[16:17], v[64:65]
	v_add_f64 v[116:117], v[114:115], -v[118:119]
	v_fma_f64 v[78:79], v[120:121], s[18:19], v[78:79]
	v_fma_f64 v[64:65], v[120:121], s[6:7], v[64:65]
	v_add_f64 v[120:121], v[148:149], -v[146:147]
	v_fma_f64 v[106:107], v[108:109], s[4:5], v[78:79]
	v_add_f64 v[78:79], v[38:39], v[114:115]
	v_fma_f64 v[64:65], v[108:109], s[4:5], v[64:65]
	v_add_f64 v[120:121], v[116:117], v[120:121]
	v_add_f64 v[78:79], v[78:79], v[118:119]
	;; [unrolled: 1-line block ×5, first 2 shown]
	v_add_f64 v[146:147], v[118:119], -v[146:147]
	v_fma_f64 v[78:79], v[78:79], -0.5, v[38:39]
	v_fma_f64 v[112:113], v[110:111], s[12:13], v[78:79]
	v_fma_f64 v[78:79], v[110:111], s[16:17], v[78:79]
	;; [unrolled: 1-line block ×6, first 2 shown]
	v_add_f64 v[78:79], v[114:115], v[148:149]
	v_add_f64 v[120:121], v[118:119], -v[114:115]
	v_add_f64 v[148:149], v[114:115], -v[148:149]
	;; [unrolled: 1-line block ×3, first 2 shown]
	v_fma_f64 v[38:39], v[78:79], -0.5, v[38:39]
	v_add_f64 v[152:153], v[120:121], v[152:153]
	v_fma_f64 v[78:79], v[150:151], s[16:17], v[38:39]
	v_fma_f64 v[38:39], v[150:151], s[12:13], v[38:39]
	v_add_f64 v[150:151], v[144:145], -v[142:143]
	v_fma_f64 v[78:79], v[110:111], s[6:7], v[78:79]
	v_fma_f64 v[38:39], v[110:111], s[18:19], v[38:39]
	v_add_f64 v[150:151], v[118:119], v[150:151]
	v_fma_f64 v[120:121], v[152:153], s[4:5], v[78:79]
	v_add_f64 v[78:79], v[40:41], v[32:33]
	v_fma_f64 v[38:39], v[152:153], s[4:5], v[38:39]
	v_add_f64 v[152:153], v[138:139], -v[140:141]
	v_add_f64 v[78:79], v[78:79], v[122:123]
	v_add_f64 v[78:79], v[78:79], v[142:143]
	;; [unrolled: 1-line block ×4, first 2 shown]
	v_fma_f64 v[78:79], v[78:79], -0.5, v[40:41]
	v_fma_f64 v[114:115], v[148:149], s[16:17], v[78:79]
	v_fma_f64 v[78:79], v[148:149], s[12:13], v[78:79]
	;; [unrolled: 1-line block ×6, first 2 shown]
	v_add_f64 v[78:79], v[32:33], v[144:145]
	v_add_f64 v[32:33], v[122:123], -v[32:33]
	v_add_f64 v[122:123], v[142:143], -v[144:145]
	;; [unrolled: 1-line block ×3, first 2 shown]
	v_fma_f64 v[40:41], v[78:79], -0.5, v[40:41]
	v_add_f64 v[32:33], v[32:33], v[122:123]
	v_fma_f64 v[78:79], v[146:147], s[12:13], v[40:41]
	v_fma_f64 v[40:41], v[146:147], s[16:17], v[40:41]
	v_add_f64 v[146:147], v[132:133], -v[134:135]
	v_fma_f64 v[78:79], v[148:149], s[18:19], v[78:79]
	v_fma_f64 v[40:41], v[148:149], s[6:7], v[40:41]
	v_add_f64 v[148:149], v[126:127], -v[128:129]
	v_add_f64 v[150:151], v[146:147], v[150:151]
	v_fma_f64 v[122:123], v[32:33], s[4:5], v[78:79]
	v_fma_f64 v[40:41], v[32:33], s[4:5], v[40:41]
	v_add_f64 v[32:33], v[34:35], v[132:133]
	v_add_f64 v[78:79], v[124:125], -v[130:131]
	ds_write_b128 v203, v[42:45]
	ds_write_b128 v203, v[50:53] offset:208
	ds_write_b128 v203, v[58:61] offset:416
	ds_write_b128 v203, v[54:57] offset:624
	ds_write_b128 v203, v[46:49] offset:832
	ds_write_b128 v231, v[66:69]
	ds_write_b128 v231, v[74:77] offset:208
	ds_write_b128 v231, v[88:91] offset:416
	ds_write_b128 v231, v[84:87] offset:624
	ds_write_b128 v231, v[70:73] offset:832
	;; [unrolled: 5-line block ×4, first 2 shown]
	buffer_load_dword v0, off, s[56:59], 0 offset:432 ; 4-byte Folded Reload
	v_add_f64 v[32:33], v[32:33], v[134:135]
	v_add_f64 v[32:33], v[32:33], v[138:139]
	;; [unrolled: 1-line block ×4, first 2 shown]
	v_fma_f64 v[32:33], v[32:33], -0.5, v[34:35]
	v_fma_f64 v[144:145], v[78:79], s[12:13], v[32:33]
	v_fma_f64 v[32:33], v[78:79], s[16:17], v[32:33]
	;; [unrolled: 1-line block ×5, first 2 shown]
	v_add_f64 v[144:145], v[132:133], v[140:141]
	v_fma_f64 v[32:33], v[150:151], s[4:5], v[32:33]
	v_add_f64 v[150:151], v[134:135], -v[132:133]
	v_add_f64 v[134:135], v[134:135], -v[138:139]
	;; [unrolled: 1-line block ×3, first 2 shown]
	v_fma_f64 v[34:35], v[144:145], -0.5, v[34:35]
	v_add_f64 v[152:153], v[150:151], v[152:153]
	v_fma_f64 v[144:145], v[148:149], s[16:17], v[34:35]
	v_fma_f64 v[34:35], v[148:149], s[12:13], v[34:35]
	;; [unrolled: 1-line block ×4, first 2 shown]
	v_add_f64 v[78:79], v[132:133], -v[140:141]
	v_add_f64 v[140:141], v[130:131], -v[128:129]
	v_fma_f64 v[150:151], v[152:153], s[4:5], v[144:145]
	v_fma_f64 v[154:155], v[152:153], s[4:5], v[34:35]
	v_add_f64 v[34:35], v[36:37], v[124:125]
	v_add_f64 v[138:139], v[138:139], v[140:141]
	;; [unrolled: 1-line block ×6, first 2 shown]
	v_fma_f64 v[34:35], v[34:35], -0.5, v[36:37]
	v_fma_f64 v[132:133], v[78:79], s[16:17], v[34:35]
	v_fma_f64 v[34:35], v[78:79], s[12:13], v[34:35]
	;; [unrolled: 1-line block ×5, first 2 shown]
	v_add_f64 v[132:133], v[124:125], v[130:131]
	v_add_f64 v[124:125], v[126:127], -v[124:125]
	v_add_f64 v[126:127], v[128:129], -v[130:131]
	v_fma_f64 v[34:35], v[138:139], s[4:5], v[34:35]
	v_fma_f64 v[36:37], v[132:133], -0.5, v[36:37]
	v_add_f64 v[124:125], v[124:125], v[126:127]
	v_fma_f64 v[132:133], v[134:135], s[12:13], v[36:37]
	v_fma_f64 v[36:37], v[134:135], s[16:17], v[36:37]
	;; [unrolled: 1-line block ×6, first 2 shown]
	s_waitcnt vmcnt(0)
	ds_write_b128 v0, v[142:145]
	ds_write_b128 v0, v[146:149] offset:208
	ds_write_b128 v0, v[150:153] offset:416
	;; [unrolled: 1-line block ×4, first 2 shown]
	s_waitcnt lgkmcnt(0)
	s_barrier
	ds_read_b128 v[68:71], v176
	ds_read_b128 v[132:135], v176 offset:5200
	ds_read_b128 v[128:131], v176 offset:10400
	;; [unrolled: 1-line block ×23, first 2 shown]
	s_and_saveexec_b64 s[4:5], s[2:3]
	s_cbranch_execz .LBB0_19
; %bb.18:
	ds_read_b128 v[32:35], v176 offset:4992
	ds_read_b128 v[80:83], v176 offset:10192
	;; [unrolled: 1-line block ×3, first 2 shown]
	s_waitcnt lgkmcnt(0)
	buffer_store_dword v0, off, s[56:59], 0 ; 4-byte Folded Spill
	s_nop 0
	buffer_store_dword v1, off, s[56:59], 0 offset:4 ; 4-byte Folded Spill
	buffer_store_dword v2, off, s[56:59], 0 offset:8 ; 4-byte Folded Spill
	;; [unrolled: 1-line block ×3, first 2 shown]
.LBB0_19:
	s_or_b64 exec, exec, s[4:5]
	buffer_load_dword v0, off, s[56:59], 0 offset:452 ; 4-byte Folded Reload
	buffer_load_dword v1, off, s[56:59], 0 offset:456 ; 4-byte Folded Reload
	;; [unrolled: 1-line block ×4, first 2 shown]
	s_mov_b32 s4, 0xe8584caa
	s_mov_b32 s5, 0xbfebb67a
	;; [unrolled: 1-line block ×4, first 2 shown]
	v_add_u32_e32 v140, 0x4e0, v178
	v_add_u32_e32 v139, 0x750, v178
	;; [unrolled: 1-line block ×3, first 2 shown]
	s_waitcnt vmcnt(0) lgkmcnt(14)
	v_mul_f64 v[141:142], v[2:3], v[134:135]
	v_fma_f64 v[141:142], v[0:1], v[132:133], v[141:142]
	v_mul_f64 v[132:133], v[2:3], v[132:133]
	v_fma_f64 v[132:133], v[0:1], v[134:135], -v[132:133]
	buffer_load_dword v0, off, s[56:59], 0 offset:436 ; 4-byte Folded Reload
	buffer_load_dword v1, off, s[56:59], 0 offset:440 ; 4-byte Folded Reload
	buffer_load_dword v2, off, s[56:59], 0 offset:444 ; 4-byte Folded Reload
	buffer_load_dword v3, off, s[56:59], 0 offset:448 ; 4-byte Folded Reload
	s_waitcnt vmcnt(0)
	v_mul_f64 v[134:135], v[2:3], v[130:131]
	v_fma_f64 v[134:135], v[0:1], v[128:129], v[134:135]
	v_mul_f64 v[128:129], v[2:3], v[128:129]
	v_fma_f64 v[128:129], v[0:1], v[130:131], -v[128:129]
	buffer_load_dword v0, off, s[56:59], 0 offset:500 ; 4-byte Folded Reload
	buffer_load_dword v1, off, s[56:59], 0 offset:504 ; 4-byte Folded Reload
	buffer_load_dword v2, off, s[56:59], 0 offset:508 ; 4-byte Folded Reload
	buffer_load_dword v3, off, s[56:59], 0 offset:512 ; 4-byte Folded Reload
	s_waitcnt vmcnt(0)
	v_mul_f64 v[130:131], v[2:3], v[126:127]
	v_fma_f64 v[130:131], v[0:1], v[124:125], v[130:131]
	v_mul_f64 v[124:125], v[2:3], v[124:125]
	v_fma_f64 v[124:125], v[0:1], v[126:127], -v[124:125]
	buffer_load_dword v0, off, s[56:59], 0 offset:468 ; 4-byte Folded Reload
	buffer_load_dword v1, off, s[56:59], 0 offset:472 ; 4-byte Folded Reload
	buffer_load_dword v2, off, s[56:59], 0 offset:476 ; 4-byte Folded Reload
	buffer_load_dword v3, off, s[56:59], 0 offset:480 ; 4-byte Folded Reload
	s_waitcnt vmcnt(0)
	v_mul_f64 v[126:127], v[2:3], v[122:123]
	v_fma_f64 v[126:127], v[0:1], v[120:121], v[126:127]
	v_mul_f64 v[120:121], v[2:3], v[120:121]
	v_fma_f64 v[120:121], v[0:1], v[122:123], -v[120:121]
	buffer_load_dword v0, off, s[56:59], 0 offset:516 ; 4-byte Folded Reload
	buffer_load_dword v1, off, s[56:59], 0 offset:520 ; 4-byte Folded Reload
	buffer_load_dword v2, off, s[56:59], 0 offset:524 ; 4-byte Folded Reload
	buffer_load_dword v3, off, s[56:59], 0 offset:528 ; 4-byte Folded Reload
	s_waitcnt vmcnt(0)
	v_mul_f64 v[122:123], v[2:3], v[118:119]
	v_fma_f64 v[122:123], v[0:1], v[116:117], v[122:123]
	v_mul_f64 v[116:117], v[2:3], v[116:117]
	v_fma_f64 v[116:117], v[0:1], v[118:119], -v[116:117]
	buffer_load_dword v0, off, s[56:59], 0 offset:484 ; 4-byte Folded Reload
	buffer_load_dword v1, off, s[56:59], 0 offset:488 ; 4-byte Folded Reload
	buffer_load_dword v2, off, s[56:59], 0 offset:492 ; 4-byte Folded Reload
	buffer_load_dword v3, off, s[56:59], 0 offset:496 ; 4-byte Folded Reload
	s_waitcnt vmcnt(0)
	v_mul_f64 v[118:119], v[2:3], v[114:115]
	v_fma_f64 v[118:119], v[0:1], v[112:113], v[118:119]
	v_mul_f64 v[112:113], v[2:3], v[112:113]
	v_fma_f64 v[112:113], v[0:1], v[114:115], -v[112:113]
	buffer_load_dword v0, off, s[56:59], 0 offset:548 ; 4-byte Folded Reload
	buffer_load_dword v1, off, s[56:59], 0 offset:552 ; 4-byte Folded Reload
	;; [unrolled: 1-line block ×4, first 2 shown]
	s_waitcnt vmcnt(0) lgkmcnt(13)
	v_mul_f64 v[114:115], v[2:3], v[110:111]
	v_fma_f64 v[143:144], v[0:1], v[108:109], v[114:115]
	v_mul_f64 v[108:109], v[2:3], v[108:109]
	v_fma_f64 v[145:146], v[0:1], v[110:111], -v[108:109]
	buffer_load_dword v0, off, s[56:59], 0 offset:532 ; 4-byte Folded Reload
	buffer_load_dword v1, off, s[56:59], 0 offset:536 ; 4-byte Folded Reload
	;; [unrolled: 1-line block ×4, first 2 shown]
	v_add_f64 v[110:111], v[116:117], v[112:113]
	v_fma_f64 v[110:111], v[110:111], -0.5, v[58:59]
	s_waitcnt vmcnt(0) lgkmcnt(12)
	v_mul_f64 v[108:109], v[2:3], v[106:107]
	v_fma_f64 v[147:148], v[0:1], v[104:105], v[108:109]
	v_mul_f64 v[104:105], v[2:3], v[104:105]
	v_add_f64 v[108:109], v[116:117], -v[112:113]
	v_add_f64 v[114:115], v[143:144], v[147:148]
	v_fma_f64 v[149:150], v[0:1], v[106:107], -v[104:105]
	buffer_load_dword v0, off, s[56:59], 0 offset:580 ; 4-byte Folded Reload
	buffer_load_dword v1, off, s[56:59], 0 offset:584 ; 4-byte Folded Reload
	buffer_load_dword v2, off, s[56:59], 0 offset:588 ; 4-byte Folded Reload
	buffer_load_dword v3, off, s[56:59], 0 offset:592 ; 4-byte Folded Reload
	v_add_f64 v[106:107], v[122:123], v[118:119]
	v_fma_f64 v[114:115], v[114:115], -0.5, v[52:53]
	v_fma_f64 v[106:107], v[106:107], -0.5, v[56:57]
	s_waitcnt vmcnt(0) lgkmcnt(10)
	v_mul_f64 v[104:105], v[2:3], v[102:103]
	v_fma_f64 v[151:152], v[0:1], v[100:101], v[104:105]
	v_mul_f64 v[100:101], v[2:3], v[100:101]
	v_add_f64 v[104:105], v[130:131], -v[126:127]
	v_fma_f64 v[153:154], v[0:1], v[102:103], -v[100:101]
	buffer_load_dword v0, off, s[56:59], 0 offset:564 ; 4-byte Folded Reload
	buffer_load_dword v1, off, s[56:59], 0 offset:568 ; 4-byte Folded Reload
	buffer_load_dword v2, off, s[56:59], 0 offset:572 ; 4-byte Folded Reload
	buffer_load_dword v3, off, s[56:59], 0 offset:576 ; 4-byte Folded Reload
	s_waitcnt vmcnt(0) lgkmcnt(9)
	v_mul_f64 v[100:101], v[2:3], v[98:99]
	v_fma_f64 v[155:156], v[0:1], v[96:97], v[100:101]
	v_mul_f64 v[96:97], v[2:3], v[96:97]
	v_fma_f64 v[157:158], v[0:1], v[98:99], -v[96:97]
	buffer_load_dword v0, off, s[56:59], 0 offset:612 ; 4-byte Folded Reload
	buffer_load_dword v1, off, s[56:59], 0 offset:616 ; 4-byte Folded Reload
	buffer_load_dword v2, off, s[56:59], 0 offset:620 ; 4-byte Folded Reload
	buffer_load_dword v3, off, s[56:59], 0 offset:624 ; 4-byte Folded Reload
	s_waitcnt vmcnt(0) lgkmcnt(7)
	v_mul_f64 v[96:97], v[2:3], v[94:95]
	v_fma_f64 v[159:160], v[0:1], v[92:93], v[96:97]
	v_mul_f64 v[92:93], v[2:3], v[92:93]
	;; [unrolled: 9-line block ×4, first 2 shown]
	v_fma_f64 v[98:99], v[0:1], v[86:87], -v[84:85]
	buffer_load_dword v0, off, s[56:59], 0 offset:628 ; 4-byte Folded Reload
	buffer_load_dword v1, off, s[56:59], 0 offset:632 ; 4-byte Folded Reload
	;; [unrolled: 1-line block ×4, first 2 shown]
	v_add_f64 v[86:87], v[124:125], v[120:121]
	s_waitcnt vmcnt(0) lgkmcnt(3)
	v_mul_f64 v[84:85], v[2:3], v[78:79]
	v_fma_f64 v[100:101], v[0:1], v[76:77], v[84:85]
	v_mul_f64 v[76:77], v[2:3], v[76:77]
	v_fma_f64 v[102:103], v[0:1], v[78:79], -v[76:77]
	buffer_load_dword v0, off, s[56:59], 0 offset:676 ; 4-byte Folded Reload
	buffer_load_dword v1, off, s[56:59], 0 offset:680 ; 4-byte Folded Reload
	;; [unrolled: 1-line block ×4, first 2 shown]
	v_add_f64 v[78:79], v[130:131], v[126:127]
	s_waitcnt vmcnt(0) lgkmcnt(1)
	v_mul_f64 v[76:77], v[2:3], v[74:75]
	v_fma_f64 v[88:89], v[0:1], v[72:73], v[76:77]
	v_mul_f64 v[72:73], v[2:3], v[72:73]
	v_add_f64 v[76:77], v[141:142], -v[134:135]
	v_fma_f64 v[92:93], v[0:1], v[74:75], -v[72:73]
	buffer_load_dword v0, off, s[56:59], 0 offset:660 ; 4-byte Folded Reload
	buffer_load_dword v1, off, s[56:59], 0 offset:664 ; 4-byte Folded Reload
	;; [unrolled: 1-line block ×4, first 2 shown]
	v_add_f64 v[74:75], v[132:133], v[128:129]
	s_waitcnt vmcnt(0) lgkmcnt(0)
	s_barrier
	v_mul_f64 v[72:73], v[2:3], v[66:67]
	v_fma_f64 v[90:91], v[0:1], v[64:65], v[72:73]
	v_mul_f64 v[64:65], v[2:3], v[64:65]
	v_fma_f64 v[94:95], v[0:1], v[66:67], -v[64:65]
	v_add_f64 v[66:67], v[141:142], v[134:135]
	v_add_f64 v[64:65], v[68:69], v[141:142]
	v_add_f64 v[141:142], v[159:160], -v[163:164]
	v_fma_f64 v[66:67], v[66:67], -0.5, v[68:69]
	v_add_f64 v[68:69], v[132:133], -v[128:129]
	v_add_f64 v[64:65], v[64:65], v[134:135]
	v_add_f64 v[134:135], v[161:162], v[165:166]
	v_fma_f64 v[72:73], v[68:69], s[4:5], v[66:67]
	v_fma_f64 v[68:69], v[68:69], s[6:7], v[66:67]
	v_add_f64 v[66:67], v[70:71], v[132:133]
	v_fma_f64 v[70:71], v[74:75], -0.5, v[70:71]
	v_add_f64 v[132:133], v[161:162], -v[165:166]
	v_fma_f64 v[134:135], v[134:135], -0.5, v[46:47]
	v_add_f64 v[66:67], v[66:67], v[128:129]
	v_fma_f64 v[74:75], v[76:77], s[6:7], v[70:71]
	v_fma_f64 v[70:71], v[76:77], s[4:5], v[70:71]
	ds_write_b128 v176, v[64:67]
	ds_write_b128 v176, v[72:75] offset:1040
	ds_write_b128 v176, v[68:71] offset:2080
	buffer_load_dword v0, off, s[56:59], 0 offset:692 ; 4-byte Folded Reload
	v_add_f64 v[76:77], v[60:61], v[130:131]
	v_fma_f64 v[60:61], v[78:79], -0.5, v[60:61]
	v_add_f64 v[78:79], v[124:125], -v[120:121]
	v_add_f64 v[128:129], v[151:152], -v[155:156]
	v_add_f64 v[130:131], v[159:160], v[163:164]
	v_add_f64 v[76:77], v[76:77], v[126:127]
	;; [unrolled: 1-line block ×3, first 2 shown]
	v_fma_f64 v[84:85], v[78:79], s[4:5], v[60:61]
	v_fma_f64 v[60:61], v[78:79], s[6:7], v[60:61]
	v_add_f64 v[78:79], v[62:63], v[124:125]
	v_fma_f64 v[62:63], v[86:87], -0.5, v[62:63]
	v_add_f64 v[124:125], v[153:154], -v[157:158]
	v_fma_f64 v[130:131], v[130:131], -0.5, v[44:45]
	v_fma_f64 v[126:127], v[126:127], -0.5, v[50:51]
	v_add_f64 v[78:79], v[78:79], v[120:121]
	v_fma_f64 v[86:87], v[104:105], s[6:7], v[62:63]
	v_fma_f64 v[62:63], v[104:105], s[4:5], v[62:63]
	v_add_f64 v[104:105], v[56:57], v[122:123]
	v_fma_f64 v[56:57], v[108:109], s[4:5], v[106:107]
	v_fma_f64 v[108:109], v[108:109], s[6:7], v[106:107]
	v_add_f64 v[106:107], v[58:59], v[116:117]
	v_add_f64 v[116:117], v[145:146], -v[149:150]
	v_add_f64 v[120:121], v[143:144], -v[147:148]
	v_add_f64 v[104:105], v[104:105], v[118:119]
	v_add_f64 v[106:107], v[106:107], v[112:113]
	v_add_f64 v[112:113], v[122:123], -v[118:119]
	v_add_f64 v[118:119], v[145:146], v[149:150]
	v_add_f64 v[122:123], v[151:152], v[155:156]
	v_fma_f64 v[58:59], v[112:113], s[6:7], v[110:111]
	v_fma_f64 v[110:111], v[112:113], s[4:5], v[110:111]
	s_waitcnt vmcnt(0)
	ds_write_b128 v0, v[76:79]
	ds_write_b128 v0, v[84:87] offset:1040
	ds_write_b128 v0, v[60:63] offset:2080
	ds_write_b128 v176, v[104:107] offset:3328
	ds_write_b128 v176, v[56:59] offset:4368
	ds_write_b128 v176, v[108:111] offset:5408
	buffer_load_dword v0, off, s[56:59], 0 offset:696 ; 4-byte Folded Reload
	v_add_f64 v[112:113], v[52:53], v[143:144]
	v_fma_f64 v[52:53], v[116:117], s[4:5], v[114:115]
	v_fma_f64 v[116:117], v[116:117], s[6:7], v[114:115]
	v_add_f64 v[114:115], v[54:55], v[145:146]
	v_fma_f64 v[118:119], v[118:119], -0.5, v[54:55]
	v_fma_f64 v[122:123], v[122:123], -0.5, v[48:49]
	v_add_f64 v[143:144], v[96:97], v[100:101]
	v_add_f64 v[145:146], v[98:99], -v[102:103]
	v_add_f64 v[112:113], v[112:113], v[147:148]
	v_add_f64 v[114:115], v[114:115], v[149:150]
	v_fma_f64 v[54:55], v[120:121], s[6:7], v[118:119]
	v_fma_f64 v[118:119], v[120:121], s[4:5], v[118:119]
	v_add_f64 v[120:121], v[48:49], v[151:152]
	v_fma_f64 v[48:49], v[124:125], s[4:5], v[122:123]
	v_fma_f64 v[124:125], v[124:125], s[6:7], v[122:123]
	;; [unrolled: 3-line block ×3, first 2 shown]
	v_add_f64 v[128:129], v[44:45], v[159:160]
	v_fma_f64 v[44:45], v[132:133], s[4:5], v[130:131]
	v_add_f64 v[120:121], v[120:121], v[155:156]
	v_fma_f64 v[132:133], v[132:133], s[6:7], v[130:131]
	v_add_f64 v[130:131], v[46:47], v[161:162]
	v_add_f64 v[122:123], v[122:123], v[157:158]
	v_fma_f64 v[46:47], v[141:142], s[6:7], v[134:135]
	v_fma_f64 v[134:135], v[141:142], s[4:5], v[134:135]
	v_add_f64 v[128:129], v[128:129], v[163:164]
	v_fma_f64 v[143:144], v[143:144], -0.5, v[40:41]
	v_add_f64 v[141:142], v[40:41], v[96:97]
	v_add_f64 v[96:97], v[96:97], -v[100:101]
	v_add_f64 v[130:131], v[130:131], v[165:166]
	s_waitcnt vmcnt(0)
	ds_write_b128 v0, v[112:115]
	ds_write_b128 v0, v[52:55] offset:1040
	ds_write_b128 v0, v[116:119] offset:2080
	buffer_load_dword v0, off, s[56:59], 0 offset:700 ; 4-byte Folded Reload
	v_fma_f64 v[40:41], v[145:146], s[4:5], v[143:144]
	v_fma_f64 v[145:146], v[145:146], s[6:7], v[143:144]
	v_add_f64 v[143:144], v[42:43], v[98:99]
	v_add_f64 v[98:99], v[98:99], v[102:103]
	;; [unrolled: 1-line block ×3, first 2 shown]
	v_add_f64 v[100:101], v[92:93], -v[94:95]
	s_waitcnt vmcnt(0)
	ds_write_b128 v0, v[120:123] offset:6240
	ds_write_b128 v0, v[48:51] offset:7280
	;; [unrolled: 1-line block ×3, first 2 shown]
	buffer_load_dword v0, off, s[56:59], 0 offset:704 ; 4-byte Folded Reload
	v_fma_f64 v[98:99], v[98:99], -0.5, v[42:43]
	v_add_f64 v[143:144], v[143:144], v[102:103]
	s_waitcnt vmcnt(0)
	ds_write_b128 v0, v[128:131] offset:9360
	ds_write_b128 v0, v[44:47] offset:10400
	ds_write_b128 v0, v[132:135] offset:11440
	buffer_load_dword v0, off, s[56:59], 0 offset:724 ; 4-byte Folded Reload
	v_fma_f64 v[42:43], v[96:97], s[6:7], v[98:99]
	v_fma_f64 v[147:148], v[96:97], s[4:5], v[98:99]
	v_add_f64 v[98:99], v[88:89], v[90:91]
	v_add_f64 v[96:97], v[36:37], v[88:89]
	v_add_f64 v[88:89], v[88:89], -v[90:91]
	s_waitcnt vmcnt(0)
	ds_write_b128 v0, v[141:144]
	ds_write_b128 v0, v[40:43] offset:1040
	ds_write_b128 v0, v[145:148] offset:2080
	buffer_load_dword v0, off, s[56:59], 0 offset:728 ; 4-byte Folded Reload
	v_fma_f64 v[98:99], v[98:99], -0.5, v[36:37]
	v_add_f64 v[96:97], v[96:97], v[90:91]
	v_fma_f64 v[36:37], v[100:101], s[4:5], v[98:99]
	v_fma_f64 v[100:101], v[100:101], s[6:7], v[98:99]
	v_add_f64 v[98:99], v[38:39], v[92:93]
	v_add_f64 v[92:93], v[92:93], v[94:95]
	;; [unrolled: 1-line block ×3, first 2 shown]
	v_fma_f64 v[92:93], v[92:93], -0.5, v[38:39]
	v_fma_f64 v[38:39], v[88:89], s[6:7], v[92:93]
	v_fma_f64 v[102:103], v[88:89], s[4:5], v[92:93]
	s_waitcnt vmcnt(0)
	ds_write_b128 v0, v[96:99] offset:12480
	ds_write_b128 v0, v[36:39] offset:13520
	;; [unrolled: 1-line block ×3, first 2 shown]
	s_and_saveexec_b64 s[12:13], s[2:3]
	s_cbranch_execz .LBB0_21
; %bb.20:
	buffer_load_dword v4, off, s[56:59], 0 offset:972 ; 4-byte Folded Reload
	buffer_load_dword v5, off, s[56:59], 0 offset:976 ; 4-byte Folded Reload
	;; [unrolled: 1-line block ×8, first 2 shown]
	buffer_load_dword v8, off, s[56:59], 0  ; 4-byte Folded Reload
	buffer_load_dword v9, off, s[56:59], 0 offset:4 ; 4-byte Folded Reload
	buffer_load_dword v10, off, s[56:59], 0 offset:8 ; 4-byte Folded Reload
	;; [unrolled: 1-line block ×3, first 2 shown]
	s_waitcnt vmcnt(8)
	v_mul_f64 v[36:37], v[6:7], v[80:81]
	s_waitcnt vmcnt(2)
	v_mul_f64 v[38:39], v[2:3], v[8:9]
	v_mul_f64 v[40:41], v[6:7], v[82:83]
	s_waitcnt vmcnt(0)
	v_mul_f64 v[42:43], v[2:3], v[10:11]
	v_fma_f64 v[36:37], v[4:5], v[82:83], -v[36:37]
	v_fma_f64 v[38:39], v[0:1], v[10:11], -v[38:39]
	v_fma_f64 v[40:41], v[4:5], v[80:81], v[40:41]
	v_fma_f64 v[42:43], v[0:1], v[8:9], v[42:43]
	v_add_f64 v[50:51], v[34:35], v[36:37]
	v_add_f64 v[44:45], v[36:37], v[38:39]
	v_add_f64 v[36:37], v[36:37], -v[38:39]
	v_add_f64 v[46:47], v[40:41], v[42:43]
	v_add_f64 v[48:49], v[40:41], -v[42:43]
	v_add_f64 v[40:41], v[32:33], v[40:41]
	v_fma_f64 v[44:45], v[44:45], -0.5, v[34:35]
	v_add_f64 v[34:35], v[50:51], v[38:39]
	v_fma_f64 v[46:47], v[46:47], -0.5, v[32:33]
	v_add_f64 v[32:33], v[40:41], v[42:43]
	v_fma_f64 v[42:43], v[48:49], s[6:7], v[44:45]
	v_fma_f64 v[38:39], v[48:49], s[4:5], v[44:45]
	;; [unrolled: 1-line block ×4, first 2 shown]
	ds_write_b128 v233, v[32:35] offset:12480
	ds_write_b128 v233, v[40:43] offset:13520
	;; [unrolled: 1-line block ×3, first 2 shown]
.LBB0_21:
	s_or_b64 exec, exec, s[12:13]
	s_waitcnt lgkmcnt(0)
	s_barrier
	ds_read_b128 v[48:51], v176 offset:3120
	ds_read_b128 v[60:63], v176
	ds_read_b128 v[44:47], v176 offset:624
	ds_read_b128 v[52:55], v176 offset:6240
	;; [unrolled: 1-line block ×16, first 2 shown]
	buffer_load_dword v0, off, s[56:59], 0 offset:764 ; 4-byte Folded Reload
	buffer_load_dword v1, off, s[56:59], 0 offset:768 ; 4-byte Folded Reload
	;; [unrolled: 1-line block ×4, first 2 shown]
	ds_read_b128 v[104:107], v176 offset:4992
	ds_read_b128 v[108:111], v176 offset:5616
	;; [unrolled: 1-line block ×6, first 2 shown]
	buffer_load_dword v8, off, s[56:59], 0 offset:748 ; 4-byte Folded Reload
	buffer_load_dword v9, off, s[56:59], 0 offset:752 ; 4-byte Folded Reload
	;; [unrolled: 1-line block ×8, first 2 shown]
	s_mov_b32 s2, 0x134454ff
	s_mov_b32 s3, 0xbfee6f0e
	;; [unrolled: 1-line block ×10, first 2 shown]
	s_waitcnt vmcnt(8) lgkmcnt(14)
	v_mul_f64 v[128:129], v[2:3], v[50:51]
	v_mul_f64 v[130:131], v[2:3], v[48:49]
	s_waitcnt vmcnt(4)
	v_mul_f64 v[134:135], v[10:11], v[52:53]
	s_waitcnt vmcnt(0) lgkmcnt(3)
	v_mul_f64 v[141:142], v[6:7], v[114:115]
	v_mul_f64 v[143:144], v[6:7], v[112:113]
	v_fma_f64 v[132:133], v[0:1], v[48:49], v[128:129]
	v_fma_f64 v[145:146], v[0:1], v[50:51], -v[130:131]
	buffer_load_dword v0, off, s[56:59], 0 offset:708 ; 4-byte Folded Reload
	buffer_load_dword v1, off, s[56:59], 0 offset:712 ; 4-byte Folded Reload
	;; [unrolled: 1-line block ×4, first 2 shown]
	v_mul_f64 v[48:49], v[10:11], v[54:55]
	ds_read_b128 v[128:131], v176 offset:14976
	v_fma_f64 v[134:135], v[8:9], v[54:55], -v[134:135]
	v_fma_f64 v[112:113], v[4:5], v[112:113], v[141:142]
	v_fma_f64 v[114:115], v[4:5], v[114:115], -v[143:144]
	buffer_load_dword v151, off, s[56:59], 0 offset:828 ; 4-byte Folded Reload
	buffer_load_dword v152, off, s[56:59], 0 offset:832 ; 4-byte Folded Reload
	;; [unrolled: 1-line block ×4, first 2 shown]
	v_fma_f64 v[149:150], v[8:9], v[52:53], v[48:49]
	buffer_load_dword v8, off, s[56:59], 0 offset:812 ; 4-byte Folded Reload
	buffer_load_dword v9, off, s[56:59], 0 offset:816 ; 4-byte Folded Reload
	;; [unrolled: 1-line block ×8, first 2 shown]
	s_waitcnt vmcnt(12)
	v_mul_f64 v[50:51], v[2:3], v[66:67]
	v_mul_f64 v[147:148], v[2:3], v[64:65]
	s_waitcnt vmcnt(8)
	v_mul_f64 v[48:49], v[153:154], v[74:75]
	v_fma_f64 v[64:65], v[0:1], v[64:65], v[50:51]
	v_fma_f64 v[66:67], v[0:1], v[66:67], -v[147:148]
	buffer_load_dword v0, off, s[56:59], 0 offset:780 ; 4-byte Folded Reload
	buffer_load_dword v1, off, s[56:59], 0 offset:784 ; 4-byte Folded Reload
	buffer_load_dword v2, off, s[56:59], 0 offset:788 ; 4-byte Folded Reload
	buffer_load_dword v3, off, s[56:59], 0 offset:792 ; 4-byte Folded Reload
	v_mul_f64 v[50:51], v[153:154], v[72:73]
	s_waitcnt vmcnt(8)
	v_mul_f64 v[52:53], v[10:11], v[58:59]
	v_mul_f64 v[54:55], v[10:11], v[56:57]
	s_waitcnt vmcnt(4)
	v_mul_f64 v[141:142], v[6:7], v[82:83]
	v_mul_f64 v[143:144], v[6:7], v[80:81]
	v_fma_f64 v[72:73], v[151:152], v[72:73], v[48:49]
	buffer_load_dword v155, off, s[56:59], 0 offset:892 ; 4-byte Folded Reload
	buffer_load_dword v156, off, s[56:59], 0 offset:896 ; 4-byte Folded Reload
	;; [unrolled: 1-line block ×4, first 2 shown]
	v_fma_f64 v[74:75], v[151:152], v[74:75], -v[50:51]
	v_fma_f64 v[151:152], v[8:9], v[56:57], v[52:53]
	v_fma_f64 v[153:154], v[8:9], v[58:59], -v[54:55]
	v_fma_f64 v[80:81], v[4:5], v[80:81], v[141:142]
	v_fma_f64 v[82:83], v[4:5], v[82:83], -v[143:144]
	buffer_load_dword v8, off, s[56:59], 0 offset:876 ; 4-byte Folded Reload
	buffer_load_dword v9, off, s[56:59], 0 offset:880 ; 4-byte Folded Reload
	;; [unrolled: 1-line block ×8, first 2 shown]
	s_waitcnt vmcnt(12)
	v_mul_f64 v[48:49], v[2:3], v[70:71]
	v_mul_f64 v[147:148], v[2:3], v[68:69]
	s_waitcnt vmcnt(8)
	v_mul_f64 v[50:51], v[157:158], v[78:79]
	v_fma_f64 v[68:69], v[0:1], v[68:69], v[48:49]
	v_fma_f64 v[70:71], v[0:1], v[70:71], -v[147:148]
	buffer_load_dword v0, off, s[56:59], 0 offset:844 ; 4-byte Folded Reload
	buffer_load_dword v1, off, s[56:59], 0 offset:848 ; 4-byte Folded Reload
	;; [unrolled: 1-line block ×4, first 2 shown]
	v_mul_f64 v[48:49], v[157:158], v[76:77]
	s_waitcnt vmcnt(8)
	v_mul_f64 v[52:53], v[10:11], v[90:91]
	v_mul_f64 v[54:55], v[10:11], v[88:89]
	s_waitcnt vmcnt(4)
	v_mul_f64 v[56:57], v[6:7], v[86:87]
	v_mul_f64 v[58:59], v[6:7], v[84:85]
	v_fma_f64 v[76:77], v[155:156], v[76:77], v[50:51]
	v_fma_f64 v[78:79], v[155:156], v[78:79], -v[48:49]
	v_mul_f64 v[48:49], v[14:15], v[106:107]
	v_mul_f64 v[14:15], v[14:15], v[104:105]
	v_fma_f64 v[88:89], v[8:9], v[88:89], v[52:53]
	v_fma_f64 v[90:91], v[8:9], v[90:91], -v[54:55]
	v_fma_f64 v[84:85], v[4:5], v[84:85], v[56:57]
	v_fma_f64 v[86:87], v[4:5], v[86:87], -v[58:59]
	buffer_load_dword v8, off, s[56:59], 0 offset:940 ; 4-byte Folded Reload
	buffer_load_dword v9, off, s[56:59], 0 offset:944 ; 4-byte Folded Reload
	;; [unrolled: 1-line block ×8, first 2 shown]
	v_fma_f64 v[104:105], v[12:13], v[104:105], v[48:49]
	s_waitcnt vmcnt(8)
	v_mul_f64 v[50:51], v[2:3], v[98:99]
	v_mul_f64 v[141:142], v[2:3], v[96:97]
	v_fma_f64 v[96:97], v[0:1], v[96:97], v[50:51]
	v_fma_f64 v[98:99], v[0:1], v[98:99], -v[141:142]
	buffer_load_dword v0, off, s[56:59], 0 offset:908 ; 4-byte Folded Reload
	buffer_load_dword v1, off, s[56:59], 0 offset:912 ; 4-byte Folded Reload
	;; [unrolled: 1-line block ×4, first 2 shown]
	v_fma_f64 v[50:51], v[12:13], v[106:107], -v[14:15]
	s_waitcnt lgkmcnt(1)
	v_mul_f64 v[12:13], v[22:23], v[124:125]
	v_add_f64 v[14:15], v[132:133], v[64:65]
	s_waitcnt vmcnt(8)
	v_mul_f64 v[52:53], v[10:11], v[94:95]
	v_mul_f64 v[10:11], v[10:11], v[92:93]
	s_waitcnt vmcnt(4)
	v_mul_f64 v[54:55], v[6:7], v[122:123]
	v_mul_f64 v[6:7], v[6:7], v[120:121]
	v_fma_f64 v[106:107], v[8:9], v[92:93], v[52:53]
	v_fma_f64 v[52:53], v[8:9], v[94:95], -v[10:11]
	v_fma_f64 v[94:95], v[4:5], v[120:121], v[54:55]
	v_fma_f64 v[54:55], v[4:5], v[122:123], -v[6:7]
	v_mul_f64 v[4:5], v[30:31], v[110:111]
	v_add_f64 v[6:7], v[60:61], v[132:133]
	v_mul_f64 v[8:9], v[26:27], v[116:117]
	v_add_f64 v[10:11], v[149:150], v[112:113]
	v_add_f64 v[120:121], v[72:73], -v[68:69]
	v_add_f64 v[122:123], v[84:85], -v[96:97]
	s_waitcnt vmcnt(0)
	v_mul_f64 v[48:49], v[2:3], v[102:103]
	v_mul_f64 v[2:3], v[2:3], v[100:101]
	v_fma_f64 v[92:93], v[0:1], v[100:101], v[48:49]
	v_fma_f64 v[56:57], v[0:1], v[102:103], -v[2:3]
	v_mul_f64 v[0:1], v[30:31], v[108:109]
	v_mul_f64 v[2:3], v[26:27], v[118:119]
	v_fma_f64 v[26:27], v[28:29], v[108:109], v[4:5]
	v_mul_f64 v[4:5], v[22:23], v[126:127]
	v_add_f64 v[100:101], v[64:65], -v[112:113]
	v_add_f64 v[108:109], v[149:150], -v[112:113]
	v_fma_f64 v[22:23], v[28:29], v[110:111], -v[0:1]
	v_fma_f64 v[28:29], v[24:25], v[116:117], v[2:3]
	v_add_f64 v[0:1], v[6:7], v[149:150]
	v_fma_f64 v[2:3], v[10:11], -0.5, v[60:61]
	v_add_f64 v[6:7], v[145:146], -v[66:67]
	v_fma_f64 v[30:31], v[20:21], v[124:125], v[4:5]
	s_waitcnt lgkmcnt(0)
	v_mul_f64 v[4:5], v[18:19], v[130:131]
	v_fma_f64 v[24:25], v[24:25], v[118:119], -v[8:9]
	v_fma_f64 v[20:21], v[20:21], v[126:127], -v[12:13]
	v_mul_f64 v[8:9], v[18:19], v[128:129]
	v_add_f64 v[12:13], v[134:135], -v[114:115]
	v_add_f64 v[18:19], v[132:133], -v[149:150]
	v_fma_f64 v[10:11], v[6:7], s[2:3], v[2:3]
	v_add_f64 v[0:1], v[0:1], v[112:113]
	v_fma_f64 v[58:59], v[16:17], v[128:129], v[4:5]
	v_fma_f64 v[4:5], v[14:15], -0.5, v[60:61]
	v_add_f64 v[14:15], v[134:135], v[114:115]
	v_fma_f64 v[48:49], v[16:17], v[130:131], -v[8:9]
	v_fma_f64 v[2:3], v[6:7], s[6:7], v[2:3]
	v_add_f64 v[60:61], v[112:113], -v[64:65]
	v_fma_f64 v[8:9], v[12:13], s[4:5], v[10:11]
	v_add_f64 v[10:11], v[18:19], v[100:101]
	v_add_f64 v[18:19], v[149:150], -v[132:133]
	v_fma_f64 v[16:17], v[12:13], s[6:7], v[4:5]
	v_fma_f64 v[4:5], v[12:13], s[2:3], v[4:5]
	v_add_f64 v[100:101], v[62:63], v[145:146]
	v_add_f64 v[0:1], v[0:1], v[64:65]
	v_fma_f64 v[14:15], v[14:15], -0.5, v[62:63]
	v_add_f64 v[64:65], v[132:133], -v[64:65]
	v_fma_f64 v[2:3], v[12:13], s[12:13], v[2:3]
	v_add_f64 v[18:19], v[18:19], v[60:61]
	v_fma_f64 v[12:13], v[6:7], s[4:5], v[16:17]
	v_fma_f64 v[6:7], v[6:7], s[12:13], v[4:5]
	v_add_f64 v[60:61], v[100:101], v[134:135]
	v_add_f64 v[100:101], v[145:146], v[66:67]
	v_fma_f64 v[16:17], v[10:11], s[16:17], v[8:9]
	v_fma_f64 v[102:103], v[64:65], s[6:7], v[14:15]
	;; [unrolled: 1-line block ×6, first 2 shown]
	v_add_f64 v[6:7], v[60:61], v[114:115]
	v_fma_f64 v[2:3], v[100:101], -0.5, v[62:63]
	v_add_f64 v[60:61], v[151:152], v[80:81]
	v_fma_f64 v[10:11], v[108:109], s[12:13], v[102:103]
	v_add_f64 v[18:19], v[145:146], -v[134:135]
	v_add_f64 v[62:63], v[66:67], -v[114:115]
	;; [unrolled: 1-line block ×4, first 2 shown]
	v_add_f64 v[112:113], v[44:45], v[72:73]
	v_fma_f64 v[100:101], v[108:109], s[2:3], v[2:3]
	v_fma_f64 v[2:3], v[108:109], s[6:7], v[2:3]
	v_fma_f64 v[60:61], v[60:61], -0.5, v[44:45]
	v_add_f64 v[114:115], v[74:75], -v[70:71]
	v_fma_f64 v[14:15], v[108:109], s[4:5], v[14:15]
	v_add_f64 v[108:109], v[72:73], v[68:69]
	v_add_f64 v[62:63], v[18:19], v[62:63]
	;; [unrolled: 1-line block ×3, first 2 shown]
	v_fma_f64 v[100:101], v[64:65], s[12:13], v[100:101]
	v_fma_f64 v[64:65], v[64:65], s[4:5], v[2:3]
	v_add_f64 v[110:111], v[112:113], v[151:152]
	v_fma_f64 v[112:113], v[114:115], s[2:3], v[60:61]
	v_add_f64 v[116:117], v[153:154], -v[82:83]
	v_fma_f64 v[44:45], v[108:109], -0.5, v[44:45]
	v_add_f64 v[2:3], v[6:7], v[66:67]
	v_fma_f64 v[18:19], v[62:63], s[16:17], v[10:11]
	v_fma_f64 v[6:7], v[62:63], s[16:17], v[14:15]
	v_fma_f64 v[14:15], v[102:103], s[16:17], v[100:101]
	v_fma_f64 v[10:11], v[102:103], s[16:17], v[64:65]
	v_add_f64 v[62:63], v[110:111], v[80:81]
	v_fma_f64 v[64:65], v[116:117], s[4:5], v[112:113]
	v_add_f64 v[66:67], v[72:73], -v[151:152]
	v_add_f64 v[102:103], v[68:69], -v[80:81]
	v_fma_f64 v[108:109], v[116:117], s[6:7], v[44:45]
	v_add_f64 v[110:111], v[151:152], -v[72:73]
	v_add_f64 v[112:113], v[80:81], -v[68:69]
	v_add_f64 v[100:101], v[153:154], v[82:83]
	v_fma_f64 v[60:61], v[114:115], s[6:7], v[60:61]
	v_fma_f64 v[44:45], v[116:117], s[2:3], v[44:45]
	v_add_f64 v[118:119], v[46:47], v[74:75]
	v_add_f64 v[66:67], v[66:67], v[102:103]
	v_fma_f64 v[102:103], v[114:115], s[4:5], v[108:109]
	v_add_f64 v[80:81], v[151:152], -v[80:81]
	v_add_f64 v[108:109], v[110:111], v[112:113]
	v_add_f64 v[112:113], v[74:75], v[70:71]
	v_fma_f64 v[100:101], v[100:101], -0.5, v[46:47]
	v_fma_f64 v[72:73], v[116:117], s[12:13], v[60:61]
	v_fma_f64 v[110:111], v[114:115], s[12:13], v[44:45]
	v_add_f64 v[114:115], v[118:119], v[153:154]
	v_add_f64 v[44:45], v[62:63], v[68:69]
	v_fma_f64 v[60:61], v[66:67], s[16:17], v[64:65]
	v_fma_f64 v[68:69], v[108:109], s[16:17], v[102:103]
	v_fma_f64 v[46:47], v[112:113], -0.5, v[46:47]
	v_fma_f64 v[116:117], v[120:121], s[6:7], v[100:101]
	v_fma_f64 v[64:65], v[66:67], s[16:17], v[72:73]
	;; [unrolled: 1-line block ×3, first 2 shown]
	v_add_f64 v[62:63], v[114:115], v[82:83]
	v_add_f64 v[102:103], v[74:75], -v[153:154]
	v_add_f64 v[108:109], v[88:89], v[84:85]
	v_add_f64 v[110:111], v[70:71], -v[82:83]
	v_fma_f64 v[100:101], v[120:121], s[2:3], v[100:101]
	v_fma_f64 v[112:113], v[80:81], s[2:3], v[46:47]
	v_add_f64 v[74:75], v[153:154], -v[74:75]
	v_add_f64 v[82:83], v[82:83], -v[70:71]
	v_fma_f64 v[66:67], v[80:81], s[12:13], v[116:117]
	v_fma_f64 v[46:47], v[80:81], s[6:7], v[46:47]
	v_add_f64 v[114:115], v[40:41], v[76:77]
	v_fma_f64 v[108:109], v[108:109], -0.5, v[40:41]
	v_add_f64 v[116:117], v[78:79], -v[98:99]
	v_add_f64 v[102:103], v[102:103], v[110:111]
	v_fma_f64 v[80:81], v[80:81], s[4:5], v[100:101]
	v_fma_f64 v[100:101], v[120:121], s[12:13], v[112:113]
	v_add_f64 v[74:75], v[74:75], v[82:83]
	v_add_f64 v[112:113], v[76:77], v[96:97]
	v_fma_f64 v[82:83], v[120:121], s[4:5], v[46:47]
	v_add_f64 v[110:111], v[114:115], v[88:89]
	v_fma_f64 v[114:115], v[116:117], s[2:3], v[108:109]
	v_add_f64 v[118:119], v[90:91], -v[86:87]
	v_add_f64 v[46:47], v[62:63], v[70:71]
	v_fma_f64 v[62:63], v[102:103], s[16:17], v[66:67]
	v_fma_f64 v[66:67], v[102:103], s[16:17], v[80:81]
	;; [unrolled: 1-line block ×3, first 2 shown]
	v_fma_f64 v[40:41], v[112:113], -0.5, v[40:41]
	v_add_f64 v[100:101], v[76:77], -v[88:89]
	v_add_f64 v[102:103], v[42:43], v[78:79]
	v_add_f64 v[112:113], v[96:97], -v[84:85]
	v_fma_f64 v[108:109], v[116:117], s[6:7], v[108:109]
	v_fma_f64 v[74:75], v[74:75], s[16:17], v[82:83]
	v_add_f64 v[80:81], v[110:111], v[84:85]
	v_fma_f64 v[82:83], v[118:119], s[4:5], v[114:115]
	v_add_f64 v[110:111], v[90:91], v[86:87]
	v_fma_f64 v[114:115], v[118:119], s[6:7], v[40:41]
	v_add_f64 v[120:121], v[88:89], -v[76:77]
	v_fma_f64 v[40:41], v[118:119], s[2:3], v[40:41]
	v_add_f64 v[102:103], v[102:103], v[90:91]
	v_add_f64 v[100:101], v[100:101], v[112:113]
	v_fma_f64 v[108:109], v[118:119], s[12:13], v[108:109]
	v_add_f64 v[118:119], v[78:79], v[98:99]
	v_fma_f64 v[110:111], v[110:111], -0.5, v[42:43]
	v_add_f64 v[124:125], v[76:77], -v[96:97]
	v_fma_f64 v[112:113], v[116:117], s[4:5], v[114:115]
	v_add_f64 v[114:115], v[120:121], v[122:123]
	v_fma_f64 v[116:117], v[116:117], s[12:13], v[40:41]
	v_add_f64 v[102:103], v[102:103], v[86:87]
	v_add_f64 v[122:123], v[88:89], -v[84:85]
	v_add_f64 v[40:41], v[80:81], v[96:97]
	v_fma_f64 v[76:77], v[100:101], s[16:17], v[82:83]
	v_fma_f64 v[80:81], v[100:101], s[16:17], v[108:109]
	v_fma_f64 v[82:83], v[118:119], -0.5, v[42:43]
	v_add_f64 v[108:109], v[36:37], v[104:105]
	v_fma_f64 v[120:121], v[124:125], s[6:7], v[110:111]
	v_fma_f64 v[84:85], v[114:115], s[16:17], v[112:113]
	;; [unrolled: 1-line block ×3, first 2 shown]
	v_add_f64 v[42:43], v[102:103], v[98:99]
	v_add_f64 v[100:101], v[78:79], -v[90:91]
	v_add_f64 v[102:103], v[98:99], -v[86:87]
	v_fma_f64 v[110:111], v[124:125], s[2:3], v[110:111]
	v_add_f64 v[112:113], v[106:107], v[94:95]
	v_fma_f64 v[114:115], v[122:123], s[2:3], v[82:83]
	v_add_f64 v[78:79], v[90:91], -v[78:79]
	v_add_f64 v[86:87], v[86:87], -v[98:99]
	v_fma_f64 v[82:83], v[122:123], s[6:7], v[82:83]
	v_add_f64 v[98:99], v[108:109], v[106:107]
	v_fma_f64 v[96:97], v[122:123], s[12:13], v[120:121]
	v_add_f64 v[90:91], v[100:101], v[102:103]
	v_fma_f64 v[100:101], v[122:123], s[4:5], v[110:111]
	v_fma_f64 v[102:103], v[112:113], -0.5, v[36:37]
	v_add_f64 v[108:109], v[50:51], -v[56:57]
	v_fma_f64 v[110:111], v[124:125], s[12:13], v[114:115]
	v_add_f64 v[112:113], v[78:79], v[86:87]
	v_fma_f64 v[114:115], v[124:125], s[4:5], v[82:83]
	v_add_f64 v[116:117], v[104:105], v[92:93]
	v_add_f64 v[98:99], v[98:99], v[94:95]
	v_fma_f64 v[78:79], v[90:91], s[16:17], v[96:97]
	v_fma_f64 v[82:83], v[90:91], s[16:17], v[100:101]
	;; [unrolled: 1-line block ×3, first 2 shown]
	v_add_f64 v[100:101], v[52:53], -v[54:55]
	v_fma_f64 v[86:87], v[112:113], s[16:17], v[110:111]
	v_fma_f64 v[90:91], v[112:113], s[16:17], v[114:115]
	v_fma_f64 v[110:111], v[116:117], -0.5, v[36:37]
	v_add_f64 v[36:37], v[98:99], v[92:93]
	v_add_f64 v[98:99], v[104:105], -v[106:107]
	v_add_f64 v[112:113], v[92:93], -v[94:95]
	v_fma_f64 v[102:103], v[108:109], s[6:7], v[102:103]
	v_fma_f64 v[96:97], v[100:101], s[4:5], v[96:97]
	v_add_f64 v[114:115], v[38:39], v[50:51]
	v_add_f64 v[116:117], v[52:53], v[54:55]
	v_fma_f64 v[118:119], v[100:101], s[6:7], v[110:111]
	v_add_f64 v[120:121], v[106:107], -v[104:105]
	v_add_f64 v[122:123], v[94:95], -v[92:93]
	v_add_f64 v[98:99], v[98:99], v[112:113]
	v_fma_f64 v[102:103], v[100:101], s[12:13], v[102:103]
	v_fma_f64 v[100:101], v[100:101], s[2:3], v[110:111]
	v_add_f64 v[110:111], v[114:115], v[52:53]
	v_fma_f64 v[112:113], v[116:117], -0.5, v[38:39]
	v_add_f64 v[114:115], v[104:105], -v[92:93]
	v_fma_f64 v[104:105], v[108:109], s[4:5], v[118:119]
	v_add_f64 v[116:117], v[120:121], v[122:123]
	v_fma_f64 v[92:93], v[98:99], s[16:17], v[96:97]
	v_fma_f64 v[96:97], v[98:99], s[16:17], v[102:103]
	;; [unrolled: 1-line block ×3, first 2 shown]
	v_add_f64 v[108:109], v[50:51], v[56:57]
	v_add_f64 v[102:103], v[110:111], v[54:55]
	v_fma_f64 v[110:111], v[114:115], s[6:7], v[112:113]
	v_add_f64 v[94:95], v[106:107], -v[94:95]
	v_fma_f64 v[100:101], v[116:117], s[16:17], v[104:105]
	v_add_f64 v[106:107], v[28:29], v[30:31]
	v_add_f64 v[118:119], v[50:51], -v[52:53]
	v_fma_f64 v[104:105], v[116:117], s[16:17], v[98:99]
	v_fma_f64 v[98:99], v[108:109], -0.5, v[38:39]
	v_add_f64 v[120:121], v[56:57], -v[54:55]
	v_add_f64 v[38:39], v[102:103], v[56:57]
	v_fma_f64 v[102:103], v[94:95], s[12:13], v[110:111]
	v_add_f64 v[108:109], v[32:33], v[26:27]
	v_fma_f64 v[110:111], v[106:107], -0.5, v[32:33]
	v_add_f64 v[116:117], v[22:23], -v[48:49]
	v_fma_f64 v[112:113], v[114:115], s[2:3], v[112:113]
	v_add_f64 v[50:51], v[52:53], -v[50:51]
	v_add_f64 v[52:53], v[54:55], -v[56:57]
	v_fma_f64 v[54:55], v[94:95], s[6:7], v[98:99]
	v_add_f64 v[106:107], v[118:119], v[120:121]
	v_fma_f64 v[118:119], v[94:95], s[2:3], v[98:99]
	v_add_f64 v[56:57], v[108:109], v[28:29]
	v_fma_f64 v[98:99], v[116:117], s[2:3], v[110:111]
	v_add_f64 v[108:109], v[24:25], -v[20:21]
	v_fma_f64 v[112:113], v[94:95], s[4:5], v[112:113]
	v_add_f64 v[50:51], v[50:51], v[52:53]
	v_fma_f64 v[52:53], v[114:115], s[4:5], v[54:55]
	v_add_f64 v[120:121], v[26:27], -v[28:29]
	v_add_f64 v[122:123], v[58:59], -v[30:31]
	v_add_f64 v[124:125], v[26:27], v[58:59]
	v_fma_f64 v[118:119], v[114:115], s[12:13], v[118:119]
	v_add_f64 v[54:55], v[56:57], v[30:31]
	v_fma_f64 v[56:57], v[108:109], s[4:5], v[98:99]
	v_fma_f64 v[94:95], v[106:107], s[16:17], v[102:103]
	;; [unrolled: 1-line block ×4, first 2 shown]
	v_add_f64 v[52:53], v[24:25], v[20:21]
	v_add_f64 v[112:113], v[22:23], v[48:49]
	;; [unrolled: 1-line block ×3, first 2 shown]
	v_fma_f64 v[120:121], v[124:125], -0.5, v[32:33]
	v_fma_f64 v[102:103], v[50:51], s[16:17], v[118:119]
	v_add_f64 v[32:33], v[54:55], v[58:59]
	v_fma_f64 v[54:55], v[116:117], s[6:7], v[110:111]
	v_add_f64 v[110:111], v[28:29], -v[26:27]
	v_add_f64 v[118:119], v[30:31], -v[58:59]
	v_add_f64 v[122:123], v[34:35], v[22:23]
	v_fma_f64 v[52:53], v[52:53], -0.5, v[34:35]
	v_add_f64 v[26:27], v[26:27], -v[58:59]
	v_add_f64 v[28:29], v[28:29], -v[30:31]
	v_fma_f64 v[30:31], v[112:113], -0.5, v[34:35]
	v_fma_f64 v[50:51], v[114:115], s[16:17], v[56:57]
	v_fma_f64 v[56:57], v[108:109], s[6:7], v[120:121]
	;; [unrolled: 1-line block ×3, first 2 shown]
	v_add_f64 v[34:35], v[110:111], v[118:119]
	v_fma_f64 v[58:59], v[108:109], s[2:3], v[120:121]
	v_add_f64 v[108:109], v[122:123], v[24:25]
	v_fma_f64 v[110:111], v[26:27], s[6:7], v[52:53]
	v_add_f64 v[112:113], v[22:23], -v[24:25]
	v_add_f64 v[118:119], v[48:49], -v[20:21]
	v_fma_f64 v[52:53], v[26:27], s[2:3], v[52:53]
	v_fma_f64 v[120:121], v[28:29], s[2:3], v[30:31]
	v_add_f64 v[22:23], v[24:25], -v[22:23]
	v_add_f64 v[24:25], v[20:21], -v[48:49]
	v_fma_f64 v[30:31], v[28:29], s[6:7], v[30:31]
	v_fma_f64 v[56:57], v[116:117], s[4:5], v[56:57]
	;; [unrolled: 1-line block ×3, first 2 shown]
	v_add_f64 v[108:109], v[108:109], v[20:21]
	v_fma_f64 v[110:111], v[28:29], s[12:13], v[110:111]
	v_add_f64 v[112:113], v[112:113], v[118:119]
	v_fma_f64 v[116:117], v[28:29], s[4:5], v[52:53]
	v_fma_f64 v[118:119], v[26:27], s[12:13], v[120:121]
	v_add_f64 v[120:121], v[22:23], v[24:25]
	v_fma_f64 v[30:31], v[26:27], s[4:5], v[30:31]
	v_fma_f64 v[20:21], v[114:115], s[16:17], v[54:55]
	;; [unrolled: 1-line block ×4, first 2 shown]
	v_add_f64 v[34:35], v[108:109], v[48:49]
	v_fma_f64 v[52:53], v[112:113], s[16:17], v[110:111]
	v_fma_f64 v[22:23], v[112:113], s[16:17], v[116:117]
	;; [unrolled: 1-line block ×4, first 2 shown]
	ds_write_b128 v176, v[0:3]
	ds_write_b128 v176, v[16:19] offset:3120
	ds_write_b128 v176, v[12:15] offset:6240
	;; [unrolled: 1-line block ×24, first 2 shown]
	s_waitcnt lgkmcnt(0)
	s_barrier
	ds_read_b128 v[0:3], v176
	ds_read_b128 v[4:7], v176 offset:1200
	buffer_load_dword v17, off, s[56:59], 0 offset:96 ; 4-byte Folded Reload
	buffer_load_dword v18, off, s[56:59], 0 offset:100 ; 4-byte Folded Reload
	;; [unrolled: 1-line block ×4, first 2 shown]
	v_mad_u64_u32 v[8:9], s[2:3], s10, v222, 0
	s_mul_i32 s4, s9, 0x4b
	s_mul_hi_u32 s5, s8, 0x4b
	s_add_i32 s5, s5, s4
	s_mul_i32 s4, s8, 0x4b
	s_lshl_b64 s[4:5], s[4:5], 4
	v_mov_b32_e32 v26, s5
	s_waitcnt vmcnt(0) lgkmcnt(1)
	v_mul_f64 v[10:11], v[19:20], v[2:3]
	v_mul_f64 v[12:13], v[19:20], v[0:1]
	buffer_load_dword v19, off, s[56:59], 0 offset:32 ; 4-byte Folded Reload
	buffer_load_dword v20, off, s[56:59], 0 offset:36 ; 4-byte Folded Reload
	;; [unrolled: 1-line block ×4, first 2 shown]
	v_mad_u64_u32 v[14:15], s[2:3], s11, v222, v[9:10]
	v_mad_u64_u32 v[15:16], s[2:3], s8, v232, 0
	v_fma_f64 v[0:1], v[17:18], v[0:1], v[10:11]
	v_fma_f64 v[2:3], v[17:18], v[2:3], -v[12:13]
	v_mov_b32_e32 v10, v16
	v_mad_u64_u32 v[10:11], s[2:3], s9, v232, v[10:11]
	s_mov_b32 s2, 0xaa677344
	s_mov_b32 s3, 0x3f50cdd9
	v_mov_b32_e32 v16, v10
	v_mov_b32_e32 v9, v14
	v_mul_f64 v[0:1], v[0:1], s[2:3]
	v_mul_f64 v[2:3], v[2:3], s[2:3]
	v_lshlrev_b64 v[8:9], 4, v[8:9]
	v_mov_b32_e32 v14, s15
	v_add_co_u32_e32 v17, vcc, s14, v8
	v_addc_co_u32_e32 v18, vcc, v14, v9, vcc
	v_lshlrev_b64 v[8:9], 4, v[15:16]
	v_add_co_u32_e32 v14, vcc, v17, v8
	v_addc_co_u32_e32 v15, vcc, v18, v9, vcc
	global_store_dwordx4 v[14:15], v[0:3], off
	v_add_co_u32_e32 v14, vcc, s4, v14
	v_addc_co_u32_e32 v15, vcc, v15, v26, vcc
	s_waitcnt vmcnt(1) lgkmcnt(0)
	v_mul_f64 v[10:11], v[21:22], v[6:7]
	v_mul_f64 v[12:13], v[21:22], v[4:5]
	v_fma_f64 v[10:11], v[19:20], v[4:5], v[10:11]
	v_fma_f64 v[12:13], v[19:20], v[6:7], -v[12:13]
	ds_read_b128 v[4:7], v176 offset:2400
	v_mul_f64 v[0:1], v[10:11], s[2:3]
	ds_read_b128 v[8:11], v176 offset:3600
	buffer_load_dword v18, off, s[56:59], 0 offset:48 ; 4-byte Folded Reload
	buffer_load_dword v19, off, s[56:59], 0 offset:52 ; 4-byte Folded Reload
	;; [unrolled: 1-line block ×4, first 2 shown]
	v_mul_f64 v[2:3], v[12:13], s[2:3]
	global_store_dwordx4 v[14:15], v[0:3], off
	v_add_co_u32_e32 v14, vcc, s4, v14
	v_addc_co_u32_e32 v15, vcc, v15, v26, vcc
	s_waitcnt vmcnt(1) lgkmcnt(1)
	v_mul_f64 v[12:13], v[20:21], v[6:7]
	v_mul_f64 v[16:17], v[20:21], v[4:5]
	v_fma_f64 v[4:5], v[18:19], v[4:5], v[12:13]
	v_fma_f64 v[12:13], v[18:19], v[6:7], -v[16:17]
	s_waitcnt lgkmcnt(0)
	v_mul_f64 v[16:17], v[242:243], v[10:11]
	v_mul_f64 v[18:19], v[242:243], v[8:9]
	;; [unrolled: 1-line block ×3, first 2 shown]
	ds_read_b128 v[4:7], v176 offset:4800
	v_mul_f64 v[2:3], v[12:13], s[2:3]
	v_fma_f64 v[12:13], v[240:241], v[8:9], v[16:17]
	v_fma_f64 v[16:17], v[240:241], v[10:11], -v[18:19]
	ds_read_b128 v[8:11], v176 offset:6000
	buffer_load_dword v22, off, s[56:59], 0 offset:80 ; 4-byte Folded Reload
	buffer_load_dword v23, off, s[56:59], 0 offset:84 ; 4-byte Folded Reload
	;; [unrolled: 1-line block ×4, first 2 shown]
	s_waitcnt vmcnt(0) lgkmcnt(1)
	v_mul_f64 v[18:19], v[24:25], v[6:7]
	v_mul_f64 v[20:21], v[24:25], v[4:5]
	global_store_dwordx4 v[14:15], v[0:3], off
	v_add_co_u32_e32 v14, vcc, s4, v14
	v_mul_f64 v[0:1], v[12:13], s[2:3]
	v_mul_f64 v[2:3], v[16:17], s[2:3]
	s_waitcnt lgkmcnt(0)
	v_mul_f64 v[16:17], v[246:247], v[10:11]
	v_fma_f64 v[4:5], v[22:23], v[4:5], v[18:19]
	v_fma_f64 v[12:13], v[22:23], v[6:7], -v[20:21]
	v_mul_f64 v[18:19], v[246:247], v[8:9]
	v_addc_co_u32_e32 v15, vcc, v15, v26, vcc
	global_store_dwordx4 v[14:15], v[0:3], off
	v_add_co_u32_e32 v14, vcc, s4, v14
	v_mul_f64 v[0:1], v[4:5], s[2:3]
	ds_read_b128 v[4:7], v176 offset:7200
	v_mul_f64 v[2:3], v[12:13], s[2:3]
	v_fma_f64 v[12:13], v[244:245], v[8:9], v[16:17]
	v_fma_f64 v[16:17], v[244:245], v[10:11], -v[18:19]
	ds_read_b128 v[8:11], v176 offset:8400
	s_waitcnt lgkmcnt(1)
	v_mul_f64 v[20:21], v[229:230], v[4:5]
	v_addc_co_u32_e32 v15, vcc, v15, v26, vcc
	v_mul_f64 v[18:19], v[229:230], v[6:7]
	global_store_dwordx4 v[14:15], v[0:3], off
	v_add_co_u32_e32 v14, vcc, s4, v14
	v_mul_f64 v[0:1], v[12:13], s[2:3]
	v_fma_f64 v[12:13], v[227:228], v[6:7], -v[20:21]
	buffer_load_dword v20, off, s[56:59], 0 offset:64 ; 4-byte Folded Reload
	buffer_load_dword v21, off, s[56:59], 0 offset:68 ; 4-byte Folded Reload
	;; [unrolled: 1-line block ×4, first 2 shown]
	v_mul_f64 v[2:3], v[16:17], s[2:3]
	v_fma_f64 v[4:5], v[227:228], v[4:5], v[18:19]
	v_addc_co_u32_e32 v15, vcc, v15, v26, vcc
	global_store_dwordx4 v[14:15], v[0:3], off
	s_nop 0
	v_mul_f64 v[0:1], v[4:5], s[2:3]
	ds_read_b128 v[4:7], v176 offset:9600
	v_mul_f64 v[2:3], v[12:13], s[2:3]
	v_add_co_u32_e32 v14, vcc, s4, v14
	v_addc_co_u32_e32 v15, vcc, v15, v26, vcc
	global_store_dwordx4 v[14:15], v[0:3], off
	v_add_co_u32_e32 v14, vcc, s4, v14
	v_addc_co_u32_e32 v15, vcc, v15, v26, vcc
	s_waitcnt vmcnt(2) lgkmcnt(1)
	v_mul_f64 v[16:17], v[22:23], v[10:11]
	v_mul_f64 v[18:19], v[22:23], v[8:9]
	v_fma_f64 v[12:13], v[20:21], v[8:9], v[16:17]
	v_fma_f64 v[16:17], v[20:21], v[10:11], -v[18:19]
	ds_read_b128 v[8:11], v176 offset:10800
	s_waitcnt lgkmcnt(1)
	v_mul_f64 v[20:21], v[238:239], v[4:5]
	v_mul_f64 v[18:19], v[238:239], v[6:7]
	;; [unrolled: 1-line block ×4, first 2 shown]
	v_fma_f64 v[12:13], v[236:237], v[6:7], -v[20:21]
	buffer_load_dword v20, off, s[56:59], 0 offset:16 ; 4-byte Folded Reload
	buffer_load_dword v21, off, s[56:59], 0 offset:20 ; 4-byte Folded Reload
	buffer_load_dword v22, off, s[56:59], 0 offset:24 ; 4-byte Folded Reload
	buffer_load_dword v23, off, s[56:59], 0 offset:28 ; 4-byte Folded Reload
	v_fma_f64 v[4:5], v[236:237], v[4:5], v[18:19]
	global_store_dwordx4 v[14:15], v[0:3], off
	s_nop 0
	v_mul_f64 v[2:3], v[12:13], s[2:3]
	v_mul_f64 v[0:1], v[4:5], s[2:3]
	ds_read_b128 v[4:7], v176 offset:12000
	s_waitcnt vmcnt(1) lgkmcnt(1)
	v_mul_f64 v[16:17], v[22:23], v[10:11]
	v_mul_f64 v[18:19], v[22:23], v[8:9]
	v_add_co_u32_e32 v22, vcc, s4, v14
	v_addc_co_u32_e32 v23, vcc, v15, v26, vcc
	global_store_dwordx4 v[22:23], v[0:3], off
	v_add_co_u32_e32 v22, vcc, s4, v22
	v_fma_f64 v[12:13], v[20:21], v[8:9], v[16:17]
	v_fma_f64 v[16:17], v[20:21], v[10:11], -v[18:19]
	ds_read_b128 v[8:11], v176 offset:13200
	s_waitcnt lgkmcnt(1)
	v_mul_f64 v[18:19], v[225:226], v[6:7]
	v_mul_f64 v[20:21], v[225:226], v[4:5]
	v_addc_co_u32_e32 v23, vcc, v23, v26, vcc
	v_mul_f64 v[0:1], v[12:13], s[2:3]
	ds_read_b128 v[12:15], v176 offset:14400
	v_mul_f64 v[2:3], v[16:17], s[2:3]
	v_fma_f64 v[4:5], v[223:224], v[4:5], v[18:19]
	v_fma_f64 v[6:7], v[223:224], v[6:7], -v[20:21]
	s_waitcnt lgkmcnt(1)
	v_mul_f64 v[16:17], v[250:251], v[10:11]
	v_mul_f64 v[18:19], v[250:251], v[8:9]
	s_waitcnt lgkmcnt(0)
	v_mul_f64 v[20:21], v[254:255], v[14:15]
	v_mul_f64 v[24:25], v[254:255], v[12:13]
	global_store_dwordx4 v[22:23], v[0:3], off
	s_nop 0
	v_mul_f64 v[0:1], v[4:5], s[2:3]
	v_mul_f64 v[2:3], v[6:7], s[2:3]
	v_fma_f64 v[4:5], v[248:249], v[8:9], v[16:17]
	v_fma_f64 v[6:7], v[248:249], v[10:11], -v[18:19]
	v_fma_f64 v[8:9], v[252:253], v[12:13], v[20:21]
	v_fma_f64 v[10:11], v[252:253], v[14:15], -v[24:25]
	v_add_co_u32_e32 v12, vcc, s4, v22
	v_addc_co_u32_e32 v13, vcc, v23, v26, vcc
	v_mul_f64 v[4:5], v[4:5], s[2:3]
	v_mul_f64 v[6:7], v[6:7], s[2:3]
	;; [unrolled: 1-line block ×4, first 2 shown]
	global_store_dwordx4 v[12:13], v[0:3], off
	s_nop 0
	v_add_co_u32_e32 v0, vcc, s4, v12
	v_addc_co_u32_e32 v1, vcc, v13, v26, vcc
	global_store_dwordx4 v[0:1], v[4:7], off
	v_add_co_u32_e32 v0, vcc, s4, v0
	v_addc_co_u32_e32 v1, vcc, v1, v26, vcc
	global_store_dwordx4 v[0:1], v[8:11], off
	s_and_b64 exec, exec, s[0:1]
	s_cbranch_execz .LBB0_23
; %bb.22:
	global_load_dwordx4 v[2:5], v[136:137], off offset:624
	ds_read_b128 v[6:9], v176 offset:624
	ds_read_b128 v[10:13], v176 offset:1824
	v_mov_b32_e32 v18, s5
	s_waitcnt vmcnt(0) lgkmcnt(1)
	v_mul_f64 v[14:15], v[8:9], v[4:5]
	v_mul_f64 v[4:5], v[6:7], v[4:5]
	v_fma_f64 v[6:7], v[6:7], v[2:3], v[14:15]
	v_fma_f64 v[4:5], v[2:3], v[8:9], -v[4:5]
	v_mul_f64 v[2:3], v[6:7], s[2:3]
	v_mul_f64 v[4:5], v[4:5], s[2:3]
	v_mov_b32_e32 v6, 0xffffca30
	v_mad_u64_u32 v[6:7], s[0:1], s8, v6, v[0:1]
	s_mul_i32 s0, s9, 0xffffca30
	s_sub_i32 s0, s0, s8
	v_add_u32_e32 v7, s0, v7
	s_movk_i32 s0, 0x1000
	global_store_dwordx4 v[6:7], v[2:5], off
	global_load_dwordx4 v[0:3], v[136:137], off offset:1824
	s_waitcnt vmcnt(0) lgkmcnt(0)
	v_mul_f64 v[4:5], v[12:13], v[2:3]
	v_mul_f64 v[2:3], v[10:11], v[2:3]
	v_fma_f64 v[4:5], v[10:11], v[0:1], v[4:5]
	v_fma_f64 v[2:3], v[0:1], v[12:13], -v[2:3]
	v_add_co_u32_e32 v12, vcc, s4, v6
	v_addc_co_u32_e32 v13, vcc, v7, v18, vcc
	v_mul_f64 v[0:1], v[4:5], s[2:3]
	v_mul_f64 v[2:3], v[2:3], s[2:3]
	global_store_dwordx4 v[12:13], v[0:3], off
	global_load_dwordx4 v[0:3], v[136:137], off offset:3024
	ds_read_b128 v[4:7], v176 offset:3024
	ds_read_b128 v[8:11], v176 offset:4224
	s_waitcnt vmcnt(0) lgkmcnt(1)
	v_mul_f64 v[14:15], v[6:7], v[2:3]
	v_mul_f64 v[2:3], v[4:5], v[2:3]
	v_fma_f64 v[4:5], v[4:5], v[0:1], v[14:15]
	v_fma_f64 v[2:3], v[0:1], v[6:7], -v[2:3]
	v_add_co_u32_e32 v14, vcc, s0, v136
	v_addc_co_u32_e32 v15, vcc, 0, v137, vcc
	s_movk_i32 s0, 0x2000
	v_mul_f64 v[0:1], v[4:5], s[2:3]
	v_mul_f64 v[2:3], v[2:3], s[2:3]
	v_add_co_u32_e32 v4, vcc, s4, v12
	v_addc_co_u32_e32 v5, vcc, v13, v18, vcc
	v_add_co_u32_e32 v12, vcc, s4, v4
	v_addc_co_u32_e32 v13, vcc, v5, v18, vcc
	global_store_dwordx4 v[4:5], v[0:3], off
	global_load_dwordx4 v[0:3], v[14:15], off offset:128
	s_waitcnt vmcnt(0) lgkmcnt(0)
	v_mul_f64 v[6:7], v[10:11], v[2:3]
	v_mul_f64 v[2:3], v[8:9], v[2:3]
	v_fma_f64 v[6:7], v[8:9], v[0:1], v[6:7]
	v_fma_f64 v[2:3], v[0:1], v[10:11], -v[2:3]
	v_mul_f64 v[0:1], v[6:7], s[2:3]
	v_mul_f64 v[2:3], v[2:3], s[2:3]
	global_store_dwordx4 v[12:13], v[0:3], off
	global_load_dwordx4 v[0:3], v[14:15], off offset:1328
	ds_read_b128 v[4:7], v176 offset:5424
	ds_read_b128 v[8:11], v176 offset:6624
	s_waitcnt vmcnt(0) lgkmcnt(1)
	v_mul_f64 v[16:17], v[6:7], v[2:3]
	v_mul_f64 v[2:3], v[4:5], v[2:3]
	v_fma_f64 v[4:5], v[4:5], v[0:1], v[16:17]
	v_fma_f64 v[2:3], v[0:1], v[6:7], -v[2:3]
	v_mul_f64 v[0:1], v[4:5], s[2:3]
	v_mul_f64 v[2:3], v[2:3], s[2:3]
	v_add_co_u32_e32 v4, vcc, s4, v12
	v_addc_co_u32_e32 v5, vcc, v13, v18, vcc
	v_add_co_u32_e32 v12, vcc, s4, v4
	v_addc_co_u32_e32 v13, vcc, v5, v18, vcc
	global_store_dwordx4 v[4:5], v[0:3], off
	global_load_dwordx4 v[0:3], v[14:15], off offset:2528
	s_waitcnt vmcnt(0) lgkmcnt(0)
	v_mul_f64 v[6:7], v[10:11], v[2:3]
	v_mul_f64 v[2:3], v[8:9], v[2:3]
	v_fma_f64 v[6:7], v[8:9], v[0:1], v[6:7]
	v_fma_f64 v[2:3], v[0:1], v[10:11], -v[2:3]
	v_mul_f64 v[0:1], v[6:7], s[2:3]
	v_mul_f64 v[2:3], v[2:3], s[2:3]
	global_store_dwordx4 v[12:13], v[0:3], off
	global_load_dwordx4 v[0:3], v[14:15], off offset:3728
	ds_read_b128 v[4:7], v176 offset:7824
	ds_read_b128 v[8:11], v176 offset:9024
	s_waitcnt vmcnt(0) lgkmcnt(1)
	v_mul_f64 v[14:15], v[6:7], v[2:3]
	v_mul_f64 v[2:3], v[4:5], v[2:3]
	v_fma_f64 v[4:5], v[4:5], v[0:1], v[14:15]
	v_fma_f64 v[2:3], v[0:1], v[6:7], -v[2:3]
	v_add_co_u32_e32 v14, vcc, s0, v136
	v_addc_co_u32_e32 v15, vcc, 0, v137, vcc
	s_movk_i32 s0, 0x3000
	v_mul_f64 v[0:1], v[4:5], s[2:3]
	v_mul_f64 v[2:3], v[2:3], s[2:3]
	v_add_co_u32_e32 v4, vcc, s4, v12
	v_addc_co_u32_e32 v5, vcc, v13, v18, vcc
	v_add_co_u32_e32 v12, vcc, s4, v4
	v_addc_co_u32_e32 v13, vcc, v5, v18, vcc
	global_store_dwordx4 v[4:5], v[0:3], off
	global_load_dwordx4 v[0:3], v[14:15], off offset:832
	s_waitcnt vmcnt(0) lgkmcnt(0)
	v_mul_f64 v[6:7], v[10:11], v[2:3]
	v_mul_f64 v[2:3], v[8:9], v[2:3]
	v_fma_f64 v[6:7], v[8:9], v[0:1], v[6:7]
	v_fma_f64 v[2:3], v[0:1], v[10:11], -v[2:3]
	v_mul_f64 v[0:1], v[6:7], s[2:3]
	v_mul_f64 v[2:3], v[2:3], s[2:3]
	global_store_dwordx4 v[12:13], v[0:3], off
	global_load_dwordx4 v[0:3], v[14:15], off offset:2032
	ds_read_b128 v[4:7], v176 offset:10224
	ds_read_b128 v[8:11], v176 offset:11424
	s_waitcnt vmcnt(0) lgkmcnt(1)
	v_mul_f64 v[16:17], v[6:7], v[2:3]
	v_mul_f64 v[2:3], v[4:5], v[2:3]
	v_fma_f64 v[4:5], v[4:5], v[0:1], v[16:17]
	v_fma_f64 v[2:3], v[0:1], v[6:7], -v[2:3]
	v_mul_f64 v[0:1], v[4:5], s[2:3]
	v_mul_f64 v[2:3], v[2:3], s[2:3]
	v_add_co_u32_e32 v4, vcc, s4, v12
	v_addc_co_u32_e32 v5, vcc, v13, v18, vcc
	v_add_co_u32_e32 v12, vcc, s0, v136
	v_addc_co_u32_e32 v13, vcc, 0, v137, vcc
	global_store_dwordx4 v[4:5], v[0:3], off
	global_load_dwordx4 v[0:3], v[14:15], off offset:3232
	v_add_co_u32_e32 v14, vcc, s4, v4
	v_addc_co_u32_e32 v15, vcc, v5, v18, vcc
	s_waitcnt vmcnt(0) lgkmcnt(0)
	v_mul_f64 v[6:7], v[10:11], v[2:3]
	v_mul_f64 v[2:3], v[8:9], v[2:3]
	v_fma_f64 v[6:7], v[8:9], v[0:1], v[6:7]
	v_fma_f64 v[2:3], v[0:1], v[10:11], -v[2:3]
	v_mul_f64 v[0:1], v[6:7], s[2:3]
	v_mul_f64 v[2:3], v[2:3], s[2:3]
	global_store_dwordx4 v[14:15], v[0:3], off
	global_load_dwordx4 v[0:3], v[12:13], off offset:336
	ds_read_b128 v[4:7], v176 offset:12624
	ds_read_b128 v[8:11], v176 offset:13824
	s_waitcnt vmcnt(0) lgkmcnt(1)
	v_mul_f64 v[16:17], v[6:7], v[2:3]
	v_mul_f64 v[2:3], v[4:5], v[2:3]
	v_fma_f64 v[4:5], v[4:5], v[0:1], v[16:17]
	v_fma_f64 v[2:3], v[0:1], v[6:7], -v[2:3]
	v_mul_f64 v[0:1], v[4:5], s[2:3]
	v_mul_f64 v[2:3], v[2:3], s[2:3]
	v_add_co_u32_e32 v4, vcc, s4, v14
	v_addc_co_u32_e32 v5, vcc, v15, v18, vcc
	global_store_dwordx4 v[4:5], v[0:3], off
	global_load_dwordx4 v[0:3], v[12:13], off offset:1536
	s_waitcnt vmcnt(0) lgkmcnt(0)
	v_mul_f64 v[6:7], v[10:11], v[2:3]
	v_mul_f64 v[2:3], v[8:9], v[2:3]
	v_fma_f64 v[6:7], v[8:9], v[0:1], v[6:7]
	v_fma_f64 v[2:3], v[0:1], v[10:11], -v[2:3]
	v_add_co_u32_e32 v8, vcc, s4, v4
	v_addc_co_u32_e32 v9, vcc, v5, v18, vcc
	v_mul_f64 v[0:1], v[6:7], s[2:3]
	v_mul_f64 v[2:3], v[2:3], s[2:3]
	ds_read_b128 v[4:7], v176 offset:15024
	global_store_dwordx4 v[8:9], v[0:3], off
	global_load_dwordx4 v[0:3], v[12:13], off offset:2736
	s_waitcnt vmcnt(0) lgkmcnt(0)
	v_mul_f64 v[10:11], v[6:7], v[2:3]
	v_mul_f64 v[2:3], v[4:5], v[2:3]
	v_fma_f64 v[4:5], v[4:5], v[0:1], v[10:11]
	v_fma_f64 v[2:3], v[0:1], v[6:7], -v[2:3]
	v_mul_f64 v[0:1], v[4:5], s[2:3]
	v_mul_f64 v[2:3], v[2:3], s[2:3]
	v_add_co_u32_e32 v4, vcc, s4, v8
	v_addc_co_u32_e32 v5, vcc, v9, v18, vcc
	global_store_dwordx4 v[4:5], v[0:3], off
.LBB0_23:
	s_endpgm
	.section	.rodata,"a",@progbits
	.p2align	6, 0x0
	.amdhsa_kernel bluestein_single_fwd_len975_dim1_dp_op_CI_CI
		.amdhsa_group_segment_fixed_size 46800
		.amdhsa_private_segment_fixed_size 1052
		.amdhsa_kernarg_size 104
		.amdhsa_user_sgpr_count 6
		.amdhsa_user_sgpr_private_segment_buffer 1
		.amdhsa_user_sgpr_dispatch_ptr 0
		.amdhsa_user_sgpr_queue_ptr 0
		.amdhsa_user_sgpr_kernarg_segment_ptr 1
		.amdhsa_user_sgpr_dispatch_id 0
		.amdhsa_user_sgpr_flat_scratch_init 0
		.amdhsa_user_sgpr_private_segment_size 0
		.amdhsa_uses_dynamic_stack 0
		.amdhsa_system_sgpr_private_segment_wavefront_offset 1
		.amdhsa_system_sgpr_workgroup_id_x 1
		.amdhsa_system_sgpr_workgroup_id_y 0
		.amdhsa_system_sgpr_workgroup_id_z 0
		.amdhsa_system_sgpr_workgroup_info 0
		.amdhsa_system_vgpr_workitem_id 0
		.amdhsa_next_free_vgpr 256
		.amdhsa_next_free_sgpr 60
		.amdhsa_reserve_vcc 1
		.amdhsa_reserve_flat_scratch 0
		.amdhsa_float_round_mode_32 0
		.amdhsa_float_round_mode_16_64 0
		.amdhsa_float_denorm_mode_32 3
		.amdhsa_float_denorm_mode_16_64 3
		.amdhsa_dx10_clamp 1
		.amdhsa_ieee_mode 1
		.amdhsa_fp16_overflow 0
		.amdhsa_exception_fp_ieee_invalid_op 0
		.amdhsa_exception_fp_denorm_src 0
		.amdhsa_exception_fp_ieee_div_zero 0
		.amdhsa_exception_fp_ieee_overflow 0
		.amdhsa_exception_fp_ieee_underflow 0
		.amdhsa_exception_fp_ieee_inexact 0
		.amdhsa_exception_int_div_zero 0
	.end_amdhsa_kernel
	.text
.Lfunc_end0:
	.size	bluestein_single_fwd_len975_dim1_dp_op_CI_CI, .Lfunc_end0-bluestein_single_fwd_len975_dim1_dp_op_CI_CI
                                        ; -- End function
	.section	.AMDGPU.csdata,"",@progbits
; Kernel info:
; codeLenInByte = 45052
; NumSgprs: 64
; NumVgprs: 256
; ScratchSize: 1052
; MemoryBound: 0
; FloatMode: 240
; IeeeMode: 1
; LDSByteSize: 46800 bytes/workgroup (compile time only)
; SGPRBlocks: 7
; VGPRBlocks: 63
; NumSGPRsForWavesPerEU: 64
; NumVGPRsForWavesPerEU: 256
; Occupancy: 1
; WaveLimiterHint : 1
; COMPUTE_PGM_RSRC2:SCRATCH_EN: 1
; COMPUTE_PGM_RSRC2:USER_SGPR: 6
; COMPUTE_PGM_RSRC2:TRAP_HANDLER: 0
; COMPUTE_PGM_RSRC2:TGID_X_EN: 1
; COMPUTE_PGM_RSRC2:TGID_Y_EN: 0
; COMPUTE_PGM_RSRC2:TGID_Z_EN: 0
; COMPUTE_PGM_RSRC2:TIDIG_COMP_CNT: 0
	.type	__hip_cuid_e829301ab8e97dc6,@object ; @__hip_cuid_e829301ab8e97dc6
	.section	.bss,"aw",@nobits
	.globl	__hip_cuid_e829301ab8e97dc6
__hip_cuid_e829301ab8e97dc6:
	.byte	0                               ; 0x0
	.size	__hip_cuid_e829301ab8e97dc6, 1

	.ident	"AMD clang version 19.0.0git (https://github.com/RadeonOpenCompute/llvm-project roc-6.4.0 25133 c7fe45cf4b819c5991fe208aaa96edf142730f1d)"
	.section	".note.GNU-stack","",@progbits
	.addrsig
	.addrsig_sym __hip_cuid_e829301ab8e97dc6
	.amdgpu_metadata
---
amdhsa.kernels:
  - .args:
      - .actual_access:  read_only
        .address_space:  global
        .offset:         0
        .size:           8
        .value_kind:     global_buffer
      - .actual_access:  read_only
        .address_space:  global
        .offset:         8
        .size:           8
        .value_kind:     global_buffer
      - .actual_access:  read_only
        .address_space:  global
        .offset:         16
        .size:           8
        .value_kind:     global_buffer
      - .actual_access:  read_only
        .address_space:  global
        .offset:         24
        .size:           8
        .value_kind:     global_buffer
      - .actual_access:  read_only
        .address_space:  global
        .offset:         32
        .size:           8
        .value_kind:     global_buffer
      - .offset:         40
        .size:           8
        .value_kind:     by_value
      - .address_space:  global
        .offset:         48
        .size:           8
        .value_kind:     global_buffer
      - .address_space:  global
        .offset:         56
        .size:           8
        .value_kind:     global_buffer
      - .address_space:  global
        .offset:         64
        .size:           8
        .value_kind:     global_buffer
      - .address_space:  global
        .offset:         72
        .size:           8
        .value_kind:     global_buffer
      - .offset:         80
        .size:           4
        .value_kind:     by_value
      - .address_space:  global
        .offset:         88
        .size:           8
        .value_kind:     global_buffer
      - .address_space:  global
        .offset:         96
        .size:           8
        .value_kind:     global_buffer
    .group_segment_fixed_size: 46800
    .kernarg_segment_align: 8
    .kernarg_segment_size: 104
    .language:       OpenCL C
    .language_version:
      - 2
      - 0
    .max_flat_workgroup_size: 117
    .name:           bluestein_single_fwd_len975_dim1_dp_op_CI_CI
    .private_segment_fixed_size: 1052
    .sgpr_count:     64
    .sgpr_spill_count: 0
    .symbol:         bluestein_single_fwd_len975_dim1_dp_op_CI_CI.kd
    .uniform_work_group_size: 1
    .uses_dynamic_stack: false
    .vgpr_count:     256
    .vgpr_spill_count: 266
    .wavefront_size: 64
amdhsa.target:   amdgcn-amd-amdhsa--gfx906
amdhsa.version:
  - 1
  - 2
...

	.end_amdgpu_metadata
